;; amdgpu-corpus repo=ROCm/rocFFT kind=compiled arch=gfx1030 opt=O3
	.text
	.amdgcn_target "amdgcn-amd-amdhsa--gfx1030"
	.amdhsa_code_object_version 6
	.protected	bluestein_single_back_len390_dim1_sp_op_CI_CI ; -- Begin function bluestein_single_back_len390_dim1_sp_op_CI_CI
	.globl	bluestein_single_back_len390_dim1_sp_op_CI_CI
	.p2align	8
	.type	bluestein_single_back_len390_dim1_sp_op_CI_CI,@function
bluestein_single_back_len390_dim1_sp_op_CI_CI: ; @bluestein_single_back_len390_dim1_sp_op_CI_CI
; %bb.0:
	s_load_dwordx4 s[0:3], s[4:5], 0x28
	v_mul_u32_u24_e32 v1, 0x691, v0
	v_lshrrev_b32_e32 v1, 16, v1
	v_mad_u64_u32 v[60:61], null, s6, 3, v[1:2]
	v_mov_b32_e32 v61, 0
                                        ; kill: def $vgpr2 killed $sgpr0 killed $exec
	s_waitcnt lgkmcnt(0)
	v_cmp_gt_u64_e32 vcc_lo, s[0:1], v[60:61]
	s_and_saveexec_b32 s0, vcc_lo
	s_cbranch_execz .LBB0_23
; %bb.1:
	v_mul_hi_u32 v2, 0xaaaaaaab, v60
	s_clause 0x1
	s_load_dwordx2 s[14:15], s[4:5], 0x0
	s_load_dwordx2 s[12:13], s[4:5], 0x38
	v_mul_lo_u16 v1, v1, 39
	v_sub_nc_u16 v0, v0, v1
	v_lshrrev_b32_e32 v2, 1, v2
	v_and_b32_e32 v67, 0xffff, v0
	v_lshl_add_u32 v2, v2, 1, v2
	v_cmp_gt_u16_e32 vcc_lo, 30, v0
	v_lshlrev_b32_e32 v68, 3, v67
	v_sub_nc_u32_e32 v1, v60, v2
	v_mul_u32_u24_e32 v42, 0x186, v1
	v_lshlrev_b32_e32 v69, 3, v42
	s_and_saveexec_b32 s1, vcc_lo
	s_cbranch_execz .LBB0_3
; %bb.2:
	s_load_dwordx2 s[6:7], s[4:5], 0x18
	s_waitcnt lgkmcnt(0)
	v_add_co_u32 v22, s0, s14, v68
	v_add_co_ci_u32_e64 v23, null, s15, 0, s0
	v_add_nc_u32_e32 v55, v69, v68
	v_lshl_add_u32 v56, v67, 3, v69
	s_load_dwordx4 s[8:11], s[6:7], 0x0
	s_waitcnt lgkmcnt(0)
	v_mad_u64_u32 v[0:1], null, s10, v60, 0
	v_mad_u64_u32 v[2:3], null, s8, v67, 0
	s_mul_i32 s6, s9, 0xf0
	s_mul_hi_u32 s7, s8, 0xf0
	s_add_i32 s7, s7, s6
	v_mad_u64_u32 v[4:5], null, s11, v60, v[1:2]
	v_mad_u64_u32 v[5:6], null, s9, v67, v[3:4]
	v_mov_b32_e32 v1, v4
	s_clause 0x7
	global_load_dwordx2 v[6:7], v68, s[14:15]
	global_load_dwordx2 v[8:9], v68, s[14:15] offset:240
	global_load_dwordx2 v[10:11], v68, s[14:15] offset:480
	;; [unrolled: 1-line block ×7, first 2 shown]
	v_lshlrev_b64 v[0:1], 3, v[0:1]
	v_mov_b32_e32 v3, v5
	global_load_dwordx2 v[4:5], v68, s[14:15] offset:1920
	v_add_co_u32 v0, s0, s2, v0
	v_lshlrev_b64 v[2:3], 3, v[2:3]
	v_add_co_ci_u32_e64 v1, s0, s3, v1, s0
	s_mul_i32 s2, s8, 0xf0
	v_add_co_u32 v0, s0, v0, v2
	v_add_co_ci_u32_e64 v1, s0, v1, v3, s0
	v_add_co_u32 v2, s0, v0, s2
	v_add_co_ci_u32_e64 v3, s0, s7, v1, s0
	;; [unrolled: 2-line block ×4, first 2 shown]
	s_clause 0x1
	global_load_dwordx2 v[26:27], v[22:23], off offset:112
	global_load_dwordx2 v[28:29], v[22:23], off offset:352
	v_add_co_u32 v30, s0, v24, s2
	v_add_co_ci_u32_e64 v31, s0, s7, v25, s0
	global_load_dwordx2 v[0:1], v[0:1], off
	v_add_co_u32 v32, s0, v30, s2
	v_add_co_ci_u32_e64 v33, s0, s7, v31, s0
	s_clause 0x2
	global_load_dwordx2 v[2:3], v[2:3], off
	global_load_dwordx2 v[24:25], v[24:25], off
	global_load_dwordx2 v[30:31], v[30:31], off
	v_add_co_u32 v34, s0, v32, s2
	v_add_co_ci_u32_e64 v35, s0, s7, v33, s0
	global_load_dwordx2 v[32:33], v[32:33], off
	v_add_co_u32 v36, s0, v34, s2
	v_add_co_ci_u32_e64 v37, s0, s7, v35, s0
	global_load_dwordx2 v[34:35], v[34:35], off
	;; [unrolled: 3-line block ×8, first 2 shown]
	s_clause 0x1
	global_load_dwordx2 v[51:52], v[22:23], off offset:592
	global_load_dwordx2 v[22:23], v[22:23], off offset:832
	global_load_dwordx2 v[49:50], v[49:50], off
	s_waitcnt vmcnt(14)
	v_mul_f32_e32 v53, v1, v7
	v_mul_f32_e32 v54, v0, v7
	s_waitcnt vmcnt(12)
	v_mul_f32_e32 v7, v25, v11
	v_fmac_f32_e32 v53, v0, v6
	v_mul_f32_e32 v0, v3, v9
	v_mul_f32_e32 v9, v2, v9
	;; [unrolled: 1-line block ×3, first 2 shown]
	v_fma_f32 v54, v1, v6, -v54
	v_fmac_f32_e32 v7, v24, v10
	v_fmac_f32_e32 v0, v2, v8
	v_fma_f32 v1, v3, v8, -v9
	v_fma_f32 v8, v25, v10, -v11
	s_waitcnt vmcnt(11)
	v_mul_f32_e32 v2, v31, v13
	v_mul_f32_e32 v3, v30, v13
	ds_write_b64 v56, v[53:54]
	s_waitcnt vmcnt(9)
	v_mul_f32_e32 v6, v35, v17
	ds_write2_b64 v55, v[0:1], v[7:8] offset0:30 offset1:60
	v_mul_f32_e32 v0, v33, v15
	v_mul_f32_e32 v1, v32, v15
	v_fmac_f32_e32 v2, v30, v12
	v_fma_f32 v3, v31, v12, -v3
	v_mul_f32_e32 v7, v34, v17
	s_waitcnt vmcnt(8)
	v_mul_f32_e32 v8, v37, v19
	v_mul_f32_e32 v9, v36, v19
	s_waitcnt vmcnt(7)
	v_mul_f32_e32 v10, v39, v21
	v_mul_f32_e32 v11, v38, v21
	v_fmac_f32_e32 v0, v32, v14
	v_fma_f32 v1, v33, v14, -v1
	s_waitcnt vmcnt(6)
	v_mul_f32_e32 v12, v41, v5
	v_mul_f32_e32 v5, v40, v5
	v_fmac_f32_e32 v6, v34, v16
	v_fma_f32 v7, v35, v16, -v7
	v_fmac_f32_e32 v8, v36, v18
	s_waitcnt vmcnt(5)
	v_mul_f32_e32 v14, v44, v27
	v_mul_f32_e32 v15, v43, v27
	v_fma_f32 v13, v41, v4, -v5
	v_fma_f32 v9, v37, v18, -v9
	v_fmac_f32_e32 v10, v38, v20
	s_waitcnt vmcnt(4)
	v_mul_f32_e32 v16, v46, v29
	v_mul_f32_e32 v5, v45, v29
	v_fma_f32 v11, v39, v20, -v11
	v_fmac_f32_e32 v12, v40, v4
	s_waitcnt vmcnt(2)
	v_mul_f32_e32 v4, v48, v52
	v_mul_f32_e32 v19, v47, v52
	s_waitcnt vmcnt(0)
	v_mul_f32_e32 v18, v50, v23
	v_mul_f32_e32 v20, v49, v23
	v_add_nc_u32_e32 v24, 0x800, v55
	v_fmac_f32_e32 v14, v43, v26
	v_fma_f32 v15, v44, v26, -v15
	v_fmac_f32_e32 v16, v45, v28
	v_fma_f32 v17, v46, v28, -v5
	;; [unrolled: 2-line block ×4, first 2 shown]
	ds_write2_b64 v55, v[2:3], v[0:1] offset0:90 offset1:120
	ds_write2_b64 v55, v[6:7], v[8:9] offset0:150 offset1:180
	;; [unrolled: 1-line block ×5, first 2 shown]
.LBB0_3:
	s_or_b32 exec_lo, exec_lo, s1
	v_mov_b32_e32 v4, 0
	v_mov_b32_e32 v5, 0
	s_waitcnt lgkmcnt(0)
	s_barrier
	buffer_gl0_inv
                                        ; implicit-def: $vgpr18
                                        ; implicit-def: $vgpr12
                                        ; implicit-def: $vgpr8
                                        ; implicit-def: $vgpr28
                                        ; implicit-def: $vgpr22
                                        ; implicit-def: $vgpr26
	s_and_saveexec_b32 s0, vcc_lo
	s_cbranch_execz .LBB0_5
; %bb.4:
	v_lshl_add_u32 v0, v42, 3, v68
	v_add_nc_u32_e32 v1, 0x400, v0
	v_add_nc_u32_e32 v2, 0x800, v0
	ds_read2_b64 v[4:7], v0 offset1:30
	ds_read2_b64 v[24:27], v0 offset0:60 offset1:90
	ds_read2_b64 v[20:23], v0 offset0:120 offset1:150
	;; [unrolled: 1-line block ×5, first 2 shown]
	ds_read_b64 v[28:29], v0 offset:2880
.LBB0_5:
	s_or_b32 exec_lo, exec_lo, s0
	s_waitcnt lgkmcnt(0)
	v_sub_f32_e32 v63, v7, v29
	v_sub_f32_e32 v72, v6, v28
	v_add_f32_e32 v30, v28, v6
	v_add_f32_e32 v31, v29, v7
	v_sub_f32_e32 v71, v25, v11
	v_mul_f32_e32 v43, 0xbeedf032, v63
	v_mul_f32_e32 v48, 0xbeedf032, v72
	v_sub_f32_e32 v75, v24, v10
	v_add_f32_e32 v32, v10, v24
	v_add_f32_e32 v33, v11, v25
	v_fmamk_f32 v0, v30, 0x3f62ad3f, v43
	v_fma_f32 v1, 0x3f62ad3f, v31, -v48
	v_mul_f32_e32 v44, 0xbf52af12, v71
	v_mul_f32_e32 v49, 0xbf52af12, v75
	v_sub_f32_e32 v79, v27, v9
	v_sub_f32_e32 v80, v26, v8
	v_add_f32_e32 v0, v0, v4
	v_add_f32_e32 v1, v1, v5
	v_fmamk_f32 v2, v32, 0x3f116cb1, v44
	v_fma_f32 v3, 0x3f116cb1, v33, -v49
	v_add_f32_e32 v34, v8, v26
	v_mul_f32_e32 v47, 0xbf7e222b, v79
	v_add_f32_e32 v35, v9, v27
	v_mul_f32_e32 v53, 0xbf7e222b, v80
	v_sub_f32_e32 v81, v21, v15
	v_sub_f32_e32 v82, v20, v14
	v_add_f32_e32 v0, v2, v0
	v_add_f32_e32 v1, v3, v1
	v_fmamk_f32 v2, v34, 0x3df6dbef, v47
	v_fma_f32 v3, 0x3df6dbef, v35, -v53
	v_add_f32_e32 v40, v14, v20
	v_add_f32_e32 v41, v15, v21
	v_mul_f32_e32 v52, 0xbf6f5d39, v81
	v_mul_f32_e32 v54, 0xbf6f5d39, v82
	v_sub_f32_e32 v84, v23, v13
	v_sub_f32_e32 v86, v22, v12
	v_add_f32_e32 v0, v2, v0
	v_add_f32_e32 v1, v3, v1
	v_fmamk_f32 v2, v40, 0xbeb58ec6, v52
	v_fma_f32 v3, 0xbeb58ec6, v41, -v54
	v_add_f32_e32 v45, v12, v22
	v_mul_f32_e32 v55, 0xbf29c268, v84
	v_add_f32_e32 v46, v13, v23
	v_mul_f32_e32 v56, 0xbf29c268, v86
	v_add_f32_e32 v0, v2, v0
	v_add_f32_e32 v1, v3, v1
	v_fmamk_f32 v2, v45, 0xbf3f9e67, v55
	v_mul_f32_e32 v61, 0xbf52af12, v63
	v_fma_f32 v3, 0xbf3f9e67, v46, -v56
	v_mul_f32_e32 v74, 0xbf52af12, v72
	v_mul_f32_e32 v64, 0xbf6f5d39, v71
	v_add_f32_e32 v0, v2, v0
	v_fmamk_f32 v2, v30, 0x3f116cb1, v61
	v_add_f32_e32 v1, v3, v1
	v_fma_f32 v3, 0x3f116cb1, v31, -v74
	v_mul_f32_e32 v76, 0xbf6f5d39, v75
	v_sub_f32_e32 v91, v17, v19
	v_add_f32_e32 v2, v2, v4
	v_fmamk_f32 v36, v32, 0xbeb58ec6, v64
	v_add_f32_e32 v3, v3, v5
	v_fma_f32 v37, 0xbeb58ec6, v33, -v76
	v_mul_f32_e32 v66, 0xbe750f2a, v79
	v_mul_f32_e32 v78, 0xbe750f2a, v80
	v_sub_f32_e32 v96, v16, v18
	v_add_f32_e32 v50, v18, v16
	v_mul_f32_e32 v57, 0xbe750f2a, v91
	v_add_f32_e32 v2, v36, v2
	v_add_f32_e32 v3, v37, v3
	v_fmamk_f32 v36, v34, 0xbf788fa5, v66
	v_fma_f32 v37, 0xbf788fa5, v35, -v78
	v_mul_f32_e32 v65, 0x3f29c268, v81
	v_mul_f32_e32 v73, 0x3f29c268, v82
	v_add_f32_e32 v51, v19, v17
	v_mul_f32_e32 v58, 0xbe750f2a, v96
	v_fmamk_f32 v38, v50, 0xbf788fa5, v57
	v_add_f32_e32 v36, v36, v2
	v_add_f32_e32 v3, v37, v3
	v_fmamk_f32 v37, v40, 0xbf3f9e67, v65
	v_fma_f32 v62, 0xbf3f9e67, v41, -v73
	v_mul_f32_e32 v59, 0x3f7e222b, v84
	v_mul_f32_e32 v77, 0x3f7e222b, v86
	v_fma_f32 v39, 0xbf788fa5, v51, -v58
	v_add_f32_e32 v2, v38, v0
	v_add_f32_e32 v0, v37, v36
	;; [unrolled: 1-line block ×3, first 2 shown]
	v_fmamk_f32 v37, v45, 0x3df6dbef, v59
	v_fma_f32 v38, 0x3df6dbef, v46, -v77
	v_mul_f32_e32 v85, 0xbf7e222b, v63
	v_mul_f32_e32 v97, 0xbf7e222b, v72
	v_add_f32_e32 v3, v39, v1
	v_add_f32_e32 v0, v37, v0
	;; [unrolled: 1-line block ×3, first 2 shown]
	v_fmamk_f32 v36, v30, 0x3df6dbef, v85
	v_mul_f32_e32 v87, 0xbe750f2a, v71
	v_fma_f32 v37, 0x3df6dbef, v31, -v97
	v_mul_f32_e32 v98, 0xbe750f2a, v75
	v_mul_f32_e32 v88, 0x3f6f5d39, v79
	v_add_f32_e32 v36, v36, v4
	v_fmamk_f32 v38, v32, 0xbf788fa5, v87
	v_add_f32_e32 v37, v37, v5
	v_fma_f32 v39, 0xbf788fa5, v33, -v98
	v_mul_f32_e32 v92, 0x3f6f5d39, v80
	v_mul_f32_e32 v90, 0x3eedf032, v81
	v_add_f32_e32 v36, v38, v36
	v_fmamk_f32 v38, v34, 0xbeb58ec6, v88
	v_add_f32_e32 v37, v39, v37
	v_fma_f32 v39, 0xbeb58ec6, v35, -v92
	v_mul_f32_e32 v94, 0x3eedf032, v82
	v_mul_f32_e32 v89, 0xbf52af12, v84
	v_add_f32_e32 v36, v38, v36
	v_fmamk_f32 v38, v40, 0x3f62ad3f, v90
	v_add_f32_e32 v37, v39, v37
	v_fma_f32 v39, 0x3f62ad3f, v41, -v94
	v_mul_f32_e32 v95, 0xbf52af12, v86
	v_mul_f32_e32 v100, 0xbf6f5d39, v63
	v_add_f32_e32 v36, v38, v36
	v_fmamk_f32 v38, v45, 0x3f116cb1, v89
	v_add_f32_e32 v37, v39, v37
	v_fma_f32 v39, 0x3f116cb1, v46, -v95
	v_mul_f32_e32 v108, 0xbf6f5d39, v72
	v_mul_f32_e32 v102, 0x3f29c268, v71
	v_add_f32_e32 v36, v38, v36
	v_fmamk_f32 v38, v30, 0xbeb58ec6, v100
	v_add_f32_e32 v37, v39, v37
	v_fma_f32 v39, 0xbeb58ec6, v31, -v108
	v_mul_f32_e32 v105, 0x3f29c268, v75
	v_fmamk_f32 v99, v32, 0xbf3f9e67, v102
	v_add_f32_e32 v38, v38, v4
	v_mul_f32_e32 v101, 0x3eedf032, v79
	v_add_f32_e32 v39, v39, v5
	v_fma_f32 v104, 0xbf3f9e67, v33, -v105
	v_mul_f32_e32 v106, 0x3eedf032, v80
	v_add_f32_e32 v38, v99, v38
	v_fmamk_f32 v99, v34, 0x3f62ad3f, v101
	v_mul_f32_e32 v103, 0xbf7e222b, v81
	v_add_f32_e32 v39, v104, v39
	v_fma_f32 v104, 0x3f62ad3f, v35, -v106
	v_mul_f32_e32 v107, 0xbf7e222b, v82
	v_mul_f32_e32 v62, 0x3eedf032, v91
	v_add_f32_e32 v38, v99, v38
	v_fmamk_f32 v109, v40, 0x3df6dbef, v103
	v_add_f32_e32 v39, v104, v39
	v_fma_f32 v111, 0x3df6dbef, v41, -v107
	v_mul_f32_e32 v104, 0x3e750f2a, v84
	v_mul_f32_e32 v110, 0x3e750f2a, v86
	s_clause 0x1
	s_load_dwordx2 s[6:7], s[4:5], 0x20
	s_load_dwordx2 s[2:3], s[4:5], 0x8
	v_fmamk_f32 v70, v50, 0x3f62ad3f, v62
	v_mul_f32_e32 v83, 0x3eedf032, v96
	v_mul_f32_e32 v93, 0xbf29c268, v91
	;; [unrolled: 1-line block ×3, first 2 shown]
	v_add_f32_e32 v38, v109, v38
	v_add_f32_e32 v39, v111, v39
	v_fmamk_f32 v113, v45, 0xbf788fa5, v104
	v_fma_f32 v114, 0xbf788fa5, v46, -v110
	v_mul_f32_e32 v109, 0x3f52af12, v91
	v_mul_f32_e32 v111, 0x3f52af12, v96
	v_add_f32_e32 v0, v70, v0
	v_fma_f32 v70, 0x3f62ad3f, v51, -v83
	v_fmamk_f32 v112, v50, 0xbf3f9e67, v93
	v_fma_f32 v115, 0xbf3f9e67, v51, -v99
	v_add_f32_e32 v113, v113, v38
	v_add_f32_e32 v114, v114, v39
	v_fmamk_f32 v116, v50, 0x3f116cb1, v109
	v_fma_f32 v117, 0x3f116cb1, v51, -v111
	v_add_f32_e32 v1, v70, v1
	v_add_f32_e32 v38, v112, v36
	;; [unrolled: 1-line block ×5, first 2 shown]
	v_mul_lo_u16 v70, v67, 13
	s_waitcnt lgkmcnt(0)
	s_barrier
	buffer_gl0_inv
	s_and_saveexec_b32 s0, vcc_lo
	s_cbranch_execz .LBB0_7
; %bb.6:
	v_mul_f32_e32 v112, 0xbe750f2a, v72
	v_mul_f32_e32 v114, 0xbe750f2a, v63
	;; [unrolled: 1-line block ×5, first 2 shown]
	v_fmamk_f32 v117, v31, 0xbf788fa5, v112
	v_fma_f32 v120, 0xbf788fa5, v30, -v114
	v_mul_f32_e32 v119, 0xbf29c268, v79
	v_fmamk_f32 v121, v33, 0x3f62ad3f, v113
	v_fma_f32 v123, 0x3f62ad3f, v32, -v118
	v_add_f32_e32 v117, v117, v5
	v_add_f32_e32 v120, v120, v4
	v_mul_f32_e32 v116, 0x3f52af12, v82
	v_mul_f32_e32 v122, 0x3f52af12, v81
	v_fmamk_f32 v124, v35, 0xbf3f9e67, v115
	v_add_f32_e32 v117, v121, v117
	v_fma_f32 v125, 0xbf3f9e67, v34, -v119
	v_add_f32_e32 v120, v123, v120
	v_mul_f32_e32 v121, 0xbf6f5d39, v86
	v_fmamk_f32 v123, v41, 0x3f116cb1, v116
	v_add_f32_e32 v117, v124, v117
	v_mul_f32_e32 v124, 0xbf6f5d39, v84
	v_fma_f32 v126, 0x3f116cb1, v40, -v122
	v_add_f32_e32 v120, v125, v120
	v_fmamk_f32 v125, v46, 0xbeb58ec6, v121
	v_add_f32_e32 v117, v123, v117
	v_fma_f32 v123, 0xbeb58ec6, v45, -v124
	v_mul_f32_e32 v127, 0xbf29c268, v72
	v_add_f32_e32 v120, v126, v120
	v_mul_f32_e32 v75, 0x3f7e222b, v75
	v_add_f32_e32 v72, v125, v117
	v_mul_f32_e32 v129, 0x3f7e222b, v71
	v_mul_f32_e32 v130, 0xbf52af12, v80
	v_add_f32_e32 v117, v123, v120
	v_mul_f32_e32 v120, 0xbf29c268, v63
	v_fmamk_f32 v123, v31, 0xbf3f9e67, v127
	v_mul_f32_e32 v131, 0xbf52af12, v79
	v_fmamk_f32 v79, v35, 0x3f116cb1, v130
	v_mul_f32_e32 v126, 0x3f7e222b, v96
	v_fma_f32 v128, 0xbf3f9e67, v30, -v120
	v_add_f32_e32 v71, v123, v5
	v_fmamk_f32 v123, v33, 0x3df6dbef, v75
	v_mul_f32_e32 v125, 0x3f7e222b, v91
	v_mul_f32_e32 v86, 0x3eedf032, v86
	v_add_f32_e32 v80, v128, v4
	v_fma_f32 v128, 0x3df6dbef, v32, -v129
	v_add_f32_e32 v71, v123, v71
	v_mul_f32_e32 v123, 0x3e750f2a, v82
	v_fma_f32 v82, 0x3f116cb1, v34, -v131
	v_mul_f32_e32 v84, 0x3eedf032, v84
	v_add_f32_e32 v80, v128, v80
	v_mul_f32_e32 v128, 0x3e750f2a, v81
	v_add_f32_e32 v71, v79, v71
	v_fmamk_f32 v79, v41, 0xbf788fa5, v123
	v_fmamk_f32 v63, v51, 0x3df6dbef, v126
	v_add_f32_e32 v80, v82, v80
	v_fma_f32 v81, 0xbf788fa5, v40, -v128
	v_fma_f32 v82, 0x3df6dbef, v50, -v125
	v_add_f32_e32 v79, v79, v71
	v_fmamk_f32 v132, v46, 0x3f62ad3f, v86
	v_mul_f32_e32 v96, 0xbf6f5d39, v96
	v_add_f32_e32 v80, v81, v80
	v_fma_f32 v81, 0x3f62ad3f, v45, -v84
	v_add_f32_e32 v72, v63, v72
	v_add_f32_e32 v71, v82, v117
	;; [unrolled: 1-line block ×3, first 2 shown]
	v_mul_f32_e32 v82, 0xbeb58ec6, v30
	v_add_f32_e32 v79, v81, v80
	v_mul_f32_e32 v80, 0xbeb58ec6, v31
	v_fmamk_f32 v81, v51, 0xbeb58ec6, v96
	v_mul_f32_e32 v117, 0xbf3f9e67, v33
	v_mul_f32_e32 v91, 0xbf6f5d39, v91
	v_add_f32_e32 v6, v6, v4
	v_add_f32_e32 v108, v108, v80
	;; [unrolled: 1-line block ×3, first 2 shown]
	v_mul_f32_e32 v63, 0xbf3f9e67, v32
	v_sub_f32_e32 v81, v82, v100
	v_add_f32_e32 v82, v105, v117
	v_add_f32_e32 v100, v108, v5
	v_mul_f32_e32 v105, 0x3f62ad3f, v35
	v_sub_f32_e32 v63, v63, v102
	v_add_f32_e32 v81, v81, v4
	v_fma_f32 v102, 0xbeb58ec6, v50, -v91
	v_mul_f32_e32 v108, 0x3f62ad3f, v34
	v_add_f32_e32 v82, v82, v100
	v_add_f32_e32 v100, v106, v105
	;; [unrolled: 1-line block ×3, first 2 shown]
	v_mul_f32_e32 v81, 0x3df6dbef, v41
	v_sub_f32_e32 v101, v108, v101
	v_add_f32_e32 v79, v102, v79
	v_mul_f32_e32 v102, 0x3df6dbef, v40
	v_add_f32_e32 v82, v100, v82
	v_add_f32_e32 v81, v107, v81
	v_mul_f32_e32 v100, 0xbf788fa5, v46
	v_add_f32_e32 v63, v101, v63
	v_sub_f32_e32 v101, v102, v103
	v_mul_f32_e32 v106, 0x3df6dbef, v30
	v_add_f32_e32 v81, v81, v82
	v_mul_f32_e32 v82, 0xbf788fa5, v45
	v_add_f32_e32 v100, v110, v100
	v_add_f32_e32 v63, v101, v63
	v_mul_f32_e32 v101, 0x3f116cb1, v51
	v_mul_f32_e32 v105, 0x3f116cb1, v50
	v_sub_f32_e32 v82, v82, v104
	v_add_f32_e32 v81, v100, v81
	v_mul_f32_e32 v100, 0x3df6dbef, v31
	v_sub_f32_e32 v85, v106, v85
	v_mul_f32_e32 v104, 0x3f116cb1, v30
	v_add_f32_e32 v63, v82, v63
	v_mul_f32_e32 v82, 0xbf788fa5, v33
	v_add_f32_e32 v97, v97, v100
	v_add_f32_e32 v101, v111, v101
	v_sub_f32_e32 v105, v105, v109
	v_add_f32_e32 v85, v85, v4
	v_add_f32_e32 v98, v98, v82
	;; [unrolled: 1-line block ×5, first 2 shown]
	v_mul_f32_e32 v105, 0xbeb58ec6, v32
	v_sub_f32_e32 v61, v104, v61
	v_add_f32_e32 v97, v98, v97
	v_mul_f32_e32 v98, 0xbf788fa5, v32
	v_mul_f32_e32 v63, 0xbeb58ec6, v35
	v_sub_f32_e32 v105, v105, v64
	v_add_f32_e32 v61, v61, v4
	v_add_f32_e32 v6, v24, v6
	v_sub_f32_e32 v87, v98, v87
	v_add_f32_e32 v63, v92, v63
	v_mul_f32_e32 v92, 0x3f62ad3f, v41
	v_add_f32_e32 v61, v105, v61
	v_mul_f32_e32 v98, 0xbeb58ec6, v33
	;; [unrolled: 2-line block ×3, first 2 shown]
	v_add_f32_e32 v63, v63, v97
	v_add_f32_e32 v92, v94, v92
	v_mul_f32_e32 v97, 0xbeb58ec6, v34
	v_add_f32_e32 v76, v76, v98
	v_add_f32_e32 v87, v95, v87
	v_mul_f32_e32 v95, 0xbf788fa5, v34
	v_add_f32_e32 v63, v92, v63
	v_sub_f32_e32 v88, v97, v88
	v_mul_f32_e32 v97, 0x3f62ad3f, v40
	v_mul_f32_e32 v98, 0xbf3f9e67, v41
	v_sub_f32_e32 v66, v95, v66
	v_add_f32_e32 v63, v87, v63
	v_mul_f32_e32 v87, 0x3f116cb1, v45
	v_add_f32_e32 v85, v88, v85
	v_sub_f32_e32 v88, v97, v90
	v_add_f32_e32 v61, v66, v61
	v_add_f32_e32 v66, v7, v5
	v_mul_f32_e32 v90, 0xbf788fa5, v35
	v_sub_f32_e32 v87, v87, v89
	v_mul_f32_e32 v89, 0xbf3f9e67, v40
	v_add_f32_e32 v73, v73, v98
	v_add_f32_e32 v25, v25, v66
	;; [unrolled: 1-line block ×3, first 2 shown]
	v_mul_f32_e32 v90, 0x3df6dbef, v45
	v_sub_f32_e32 v65, v89, v65
	v_mul_f32_e32 v98, 0x3f62ad3f, v50
	v_add_f32_e32 v25, v27, v25
	v_mul_f32_e32 v102, 0x3f62ad3f, v30
	v_sub_f32_e32 v59, v90, v59
	v_add_f32_e32 v61, v65, v61
	v_sub_f32_e32 v27, v98, v62
	v_add_f32_e32 v21, v21, v25
	v_add_f32_e32 v25, v26, v6
	v_mul_f32_e32 v103, 0x3f62ad3f, v31
	v_add_f32_e32 v24, v59, v61
	v_mul_f32_e32 v100, 0x3f116cb1, v31
	v_add_f32_e32 v21, v23, v21
	v_add_f32_e32 v20, v20, v25
	v_mul_f32_e32 v107, 0x3f116cb1, v32
	v_add_f32_e32 v6, v27, v24
	v_sub_f32_e32 v24, v102, v43
	v_add_f32_e32 v17, v17, v21
	v_add_f32_e32 v20, v22, v20
	v_fmac_f32_e32 v114, 0xbf788fa5, v30
	v_mul_f32_e32 v101, 0x3f116cb1, v33
	v_add_f32_e32 v48, v48, v103
	v_add_f32_e32 v17, v19, v17
	;; [unrolled: 1-line block ×4, first 2 shown]
	v_mul_f32_e32 v94, 0x3df6dbef, v34
	v_add_f32_e32 v24, v24, v4
	v_add_f32_e32 v13, v13, v17
	;; [unrolled: 1-line block ×3, first 2 shown]
	v_fma_f32 v18, 0xbf788fa5, v31, -v112
	v_sub_f32_e32 v21, v107, v44
	v_fmac_f32_e32 v118, 0x3f62ad3f, v32
	v_add_f32_e32 v13, v15, v13
	v_add_f32_e32 v12, v12, v17
	;; [unrolled: 1-line block ×3, first 2 shown]
	v_fma_f32 v17, 0x3f62ad3f, v33, -v113
	v_fmac_f32_e32 v120, 0xbf3f9e67, v30
	v_add_f32_e32 v9, v9, v13
	v_add_f32_e32 v12, v14, v12
	v_fma_f32 v14, 0xbf3f9e67, v35, -v115
	v_add_f32_e32 v13, v17, v15
	v_mul_f32_e32 v92, 0x3df6dbef, v35
	v_add_f32_e32 v9, v11, v9
	v_add_f32_e32 v8, v8, v12
	v_fma_f32 v12, 0x3f116cb1, v41, -v116
	v_add_f32_e32 v11, v14, v13
	v_fma_f32 v13, 0xbf3f9e67, v31, -v127
	v_add_f32_e32 v48, v48, v5
	v_add_f32_e32 v8, v10, v8
	;; [unrolled: 1-line block ×4, first 2 shown]
	v_fma_f32 v11, 0xbeb58ec6, v46, -v121
	v_add_f32_e32 v12, v114, v4
	v_add_f32_e32 v85, v88, v85
	v_add_f32_e32 v74, v74, v5
	v_mul_f32_e32 v97, 0xbeb58ec6, v40
	v_mul_f32_e32 v100, 0xbf3f9e67, v51
	v_add_f32_e32 v20, v21, v24
	v_sub_f32_e32 v21, v94, v47
	v_add_f32_e32 v10, v11, v10
	v_add_f32_e32 v11, v118, v12
	;; [unrolled: 1-line block ×3, first 2 shown]
	v_fma_f32 v12, 0x3df6dbef, v33, -v75
	v_add_f32_e32 v4, v120, v4
	v_fmac_f32_e32 v129, 0x3df6dbef, v32
	v_mul_f32_e32 v88, 0xbeb58ec6, v41
	v_add_f32_e32 v48, v49, v48
	v_add_f32_e32 v49, v53, v92
	;; [unrolled: 1-line block ×3, first 2 shown]
	v_mul_f32_e32 v87, 0xbf3f9e67, v50
	v_add_f32_e32 v74, v76, v74
	v_fmac_f32_e32 v119, 0xbf3f9e67, v34
	v_add_f32_e32 v99, v99, v100
	v_mul_f32_e32 v100, 0xbf3f9e67, v45
	v_add_f32_e32 v19, v21, v20
	v_sub_f32_e32 v20, v97, v52
	v_add_f32_e32 v5, v12, v5
	v_fma_f32 v12, 0x3f116cb1, v35, -v130
	v_add_f32_e32 v4, v129, v4
	v_fmac_f32_e32 v131, 0x3f116cb1, v34
	v_mul_f32_e32 v76, 0xbf3f9e67, v46
	v_add_f32_e32 v48, v49, v48
	v_add_f32_e32 v26, v54, v88
	v_sub_f32_e32 v87, v87, v93
	v_mul_f32_e32 v93, 0x3df6dbef, v46
	v_add_f32_e32 v74, v78, v74
	v_add_f32_e32 v11, v119, v11
	v_fmac_f32_e32 v122, 0x3f116cb1, v40
	v_mul_f32_e32 v104, 0xbf788fa5, v50
	v_add_f32_e32 v18, v20, v19
	v_sub_f32_e32 v19, v100, v55
	v_add_f32_e32 v5, v12, v5
	v_fma_f32 v12, 0xbf788fa5, v41, -v123
	v_add_f32_e32 v4, v131, v4
	v_fmac_f32_e32 v128, 0xbf788fa5, v40
	v_mul_f32_e32 v78, 0xbf788fa5, v51
	v_add_f32_e32 v23, v26, v48
	v_add_f32_e32 v25, v56, v76
	v_mul_f32_e32 v106, 0x3f62ad3f, v51
	v_add_f32_e32 v73, v73, v74
	v_add_f32_e32 v74, v77, v93
	;; [unrolled: 1-line block ×3, first 2 shown]
	v_fmac_f32_e32 v124, 0xbeb58ec6, v45
	v_add_f32_e32 v15, v19, v18
	v_sub_f32_e32 v17, v104, v57
	v_add_f32_e32 v5, v12, v5
	v_fma_f32 v12, 0x3f62ad3f, v46, -v86
	v_add_f32_e32 v4, v128, v4
	v_fmac_f32_e32 v84, 0x3f62ad3f, v45
	v_add_f32_e32 v22, v25, v23
	v_add_f32_e32 v23, v58, v78
	v_and_b32_e32 v14, 0xffff, v70
	v_add_f32_e32 v73, v74, v73
	v_add_f32_e32 v74, v83, v106
	v_fma_f32 v13, 0x3df6dbef, v51, -v126
	v_add_f32_e32 v11, v124, v11
	v_fmac_f32_e32 v125, 0x3df6dbef, v50
	v_add_f32_e32 v15, v17, v15
	v_add_f32_e32 v12, v12, v5
	v_fma_f32 v17, 0xbeb58ec6, v51, -v96
	v_add_f32_e32 v18, v84, v4
	v_fmac_f32_e32 v91, 0xbeb58ec6, v50
	v_add_f32_e32 v16, v23, v22
	v_add_f32_e32 v9, v29, v9
	;; [unrolled: 1-line block ×3, first 2 shown]
	v_add_lshl_u32 v14, v42, v14, 3
	v_add_f32_e32 v64, v99, v63
	v_add_f32_e32 v63, v87, v85
	;; [unrolled: 1-line block ×7, first 2 shown]
	ds_write2_b64 v14, v[8:9], v[15:16] offset1:1
	ds_write2_b64 v14, v[6:7], v[63:64] offset0:2 offset1:3
	ds_write2_b64 v14, v[81:82], v[79:80] offset0:4 offset1:5
	;; [unrolled: 1-line block ×5, first 2 shown]
	ds_write_b64 v14, v[2:3] offset:96
.LBB0_7:
	s_or_b32 exec_lo, exec_lo, s0
	v_add_lshl_u32 v72, v42, v67, 3
	s_waitcnt lgkmcnt(0)
	s_barrier
	buffer_gl0_inv
	v_cmp_gt_u16_e64 s0, 13, v67
	v_add_nc_u32_e32 v4, 0x800, v72
	ds_read2_b64 v[24:27], v72 offset1:39
	ds_read2_b64 v[16:19], v72 offset0:78 offset1:130
	ds_read2_b64 v[28:31], v72 offset0:169 offset1:208
	;; [unrolled: 1-line block ×3, first 2 shown]
	ds_read_b64 v[40:41], v72 offset:2704
	s_and_saveexec_b32 s1, s0
	s_cbranch_execz .LBB0_9
; %bb.8:
	ds_read2_b64 v[4:7], v72 offset0:117 offset1:247
	ds_read_b64 v[0:1], v72 offset:3016
	s_waitcnt lgkmcnt(1)
	v_mov_b32_e32 v36, v4
	v_mov_b32_e32 v37, v5
	;; [unrolled: 1-line block ×4, first 2 shown]
.LBB0_9:
	s_or_b32 exec_lo, exec_lo, s1
	v_and_b32_e32 v4, 0xff, v67
	v_add_nc_u16 v5, v67, 39
	v_add_nc_u16 v6, v67, 0x4e
	;; [unrolled: 1-line block ×3, first 2 shown]
	v_mov_b32_e32 v10, 4
	v_mul_lo_u16 v4, 0x4f, v4
	v_and_b32_e32 v7, 0xff, v5
	v_mov_b32_e32 v50, 39
	s_load_dwordx4 s[4:7], s[6:7], 0x0
	v_lshrrev_b16 v43, 10, v4
	v_and_b32_e32 v4, 0xff, v6
	v_mul_lo_u16 v7, 0x4f, v7
	v_mul_lo_u16 v8, v43, 13
	;; [unrolled: 1-line block ×3, first 2 shown]
	v_lshrrev_b16 v44, 10, v7
	v_and_b32_e32 v7, 0xff, v9
	v_mul_u32_u24_sdwa v43, v43, v50 dst_sel:DWORD dst_unused:UNUSED_PAD src0_sel:WORD_0 src1_sel:DWORD
	v_sub_nc_u16 v45, v67, v8
	v_lshrrev_b16 v46, 10, v4
	v_mul_lo_u16 v4, v44, 13
	v_mul_lo_u16 v7, 0x4f, v7
	v_mul_u32_u24_sdwa v44, v44, v50 dst_sel:DWORD dst_unused:UNUSED_PAD src0_sel:WORD_0 src1_sel:DWORD
	v_lshlrev_b32_sdwa v8, v10, v45 dst_sel:DWORD dst_unused:UNUSED_PAD src0_sel:DWORD src1_sel:BYTE_0
	v_mul_lo_u16 v11, v46, 13
	v_sub_nc_u16 v47, v5, v4
	v_lshrrev_b16 v4, 10, v7
	v_mul_u32_u24_sdwa v46, v46, v50 dst_sel:DWORD dst_unused:UNUSED_PAD src0_sel:WORD_0 src1_sel:DWORD
	global_load_dwordx4 v[20:23], v8, s[2:3]
	v_sub_nc_u16 v48, v6, v11
	v_lshlrev_b32_sdwa v5, v10, v47 dst_sel:DWORD dst_unused:UNUSED_PAD src0_sel:DWORD src1_sel:BYTE_0
	v_mul_lo_u16 v4, v4, 13
	v_add_nc_u32_sdwa v43, v43, v45 dst_sel:DWORD dst_unused:UNUSED_PAD src0_sel:DWORD src1_sel:BYTE_0
	v_add_nc_u32_sdwa v44, v44, v47 dst_sel:DWORD dst_unused:UNUSED_PAD src0_sel:DWORD src1_sel:BYTE_0
	v_lshlrev_b32_sdwa v6, v10, v48 dst_sel:DWORD dst_unused:UNUSED_PAD src0_sel:DWORD src1_sel:BYTE_0
	global_load_dwordx4 v[12:15], v5, s[2:3]
	v_sub_nc_u16 v49, v9, v4
	v_add_nc_u32_sdwa v45, v46, v48 dst_sel:DWORD dst_unused:UNUSED_PAD src0_sel:DWORD src1_sel:BYTE_0
	v_add_lshl_u32 v75, v42, v43, 3
	global_load_dwordx4 v[8:11], v6, s[2:3]
	v_add_lshl_u32 v74, v42, v44, 3
	v_lshlrev_b16 v4, 1, v49
	v_add_lshl_u32 v73, v42, v45, 3
	v_and_b32_e32 v76, 0xff, v49
	v_and_b32_e32 v4, 0xfe, v4
	v_lshlrev_b32_e32 v4, 3, v4
	global_load_dwordx4 v[4:7], v4, s[2:3]
	s_waitcnt vmcnt(0) lgkmcnt(0)
	s_barrier
	buffer_gl0_inv
	v_mul_f32_e32 v43, v19, v21
	v_mul_f32_e32 v44, v18, v21
	;; [unrolled: 1-line block ×4, first 2 shown]
	v_fma_f32 v18, v18, v20, -v43
	v_fmac_f32_e32 v44, v19, v20
	v_fma_f32 v32, v32, v22, -v45
	v_fmac_f32_e32 v46, v33, v22
	v_mul_f32_e32 v19, v29, v13
	v_mul_f32_e32 v33, v28, v13
	;; [unrolled: 1-line block ×8, first 2 shown]
	v_fma_f32 v52, v28, v12, -v19
	v_fmac_f32_e32 v33, v29, v12
	v_fma_f32 v34, v34, v14, -v43
	v_fmac_f32_e32 v45, v35, v14
	;; [unrolled: 2-line block ×4, first 2 shown]
	v_add_f32_e32 v28, v24, v18
	v_add_f32_e32 v29, v18, v32
	v_sub_f32_e32 v41, v44, v46
	v_add_f32_e32 v31, v25, v44
	v_add_f32_e32 v43, v44, v46
	v_sub_f32_e32 v44, v18, v32
	v_mul_f32_e32 v47, v39, v5
	v_mul_f32_e32 v19, v38, v5
	;; [unrolled: 1-line block ×4, first 2 shown]
	v_fma_f32 v30, -0.5, v29, v24
	v_add_f32_e32 v29, v31, v46
	v_fma_f32 v31, -0.5, v43, v25
	v_fma_f32 v25, v38, v4, -v47
	v_fmac_f32_e32 v19, v39, v4
	v_fma_f32 v24, v0, v6, -v50
	v_fmac_f32_e32 v18, v1, v6
	v_add_f32_e32 v46, v52, v34
	v_add_f32_e32 v55, v33, v45
	;; [unrolled: 1-line block ×5, first 2 shown]
	v_sub_f32_e32 v58, v48, v51
	v_add_f32_e32 v59, v17, v48
	v_add_f32_e32 v48, v48, v51
	;; [unrolled: 1-line block ×3, first 2 shown]
	v_sub_f32_e32 v53, v33, v45
	v_add_f32_e32 v54, v27, v33
	v_sub_f32_e32 v52, v52, v34
	v_fma_f32 v26, -0.5, v46, v26
	v_fmac_f32_e32 v27, -0.5, v55
	v_sub_f32_e32 v39, v19, v18
	v_fma_f32 v0, -0.5, v0, v36
	v_sub_f32_e32 v47, v25, v24
	v_fma_f32 v1, -0.5, v1, v37
	v_add_f32_e32 v56, v16, v35
	v_sub_f32_e32 v61, v35, v40
	v_fma_f32 v16, -0.5, v57, v16
	v_fmac_f32_e32 v17, -0.5, v48
	v_add_f32_e32 v28, v28, v32
	v_fmamk_f32 v32, v41, 0x3f5db3d7, v30
	v_fmamk_f32 v33, v44, 0xbf5db3d7, v31
	v_fmac_f32_e32 v31, 0x3f5db3d7, v44
	v_add_f32_e32 v34, v43, v34
	v_add_f32_e32 v35, v54, v45
	v_fmamk_f32 v43, v53, 0x3f5db3d7, v26
	v_fmamk_f32 v44, v52, 0xbf5db3d7, v27
	v_fmamk_f32 v38, v39, 0x3f5db3d7, v0
	v_fmac_f32_e32 v0, 0xbf5db3d7, v39
	v_fmamk_f32 v39, v47, 0xbf5db3d7, v1
	v_fmac_f32_e32 v1, 0x3f5db3d7, v47
	v_fmac_f32_e32 v30, 0xbf5db3d7, v41
	v_fmac_f32_e32 v26, 0xbf5db3d7, v53
	v_fmac_f32_e32 v27, 0x3f5db3d7, v52
	v_add_f32_e32 v40, v56, v40
	v_add_f32_e32 v41, v59, v51
	v_fmamk_f32 v45, v58, 0x3f5db3d7, v16
	v_fmamk_f32 v46, v61, 0xbf5db3d7, v17
	v_fmac_f32_e32 v16, 0xbf5db3d7, v58
	v_fmac_f32_e32 v17, 0x3f5db3d7, v61
	ds_write2_b64 v75, v[28:29], v[32:33] offset1:13
	ds_write_b64 v75, v[30:31] offset:208
	ds_write2_b64 v74, v[34:35], v[43:44] offset1:13
	ds_write_b64 v74, v[26:27] offset:208
	;; [unrolled: 2-line block ×3, first 2 shown]
	s_and_saveexec_b32 s1, s0
	s_cbranch_execz .LBB0_11
; %bb.10:
	v_add_f32_e32 v16, v37, v19
	v_add_f32_e32 v19, v36, v25
	v_add_lshl_u32 v25, v42, v76, 3
	v_add_f32_e32 v17, v16, v18
	v_add_f32_e32 v16, v19, v24
	v_add_nc_u32_e32 v18, 0x800, v25
	ds_write2_b64 v18, v[16:17], v[38:39] offset0:95 offset1:108
	ds_write_b64 v25, v[0:1] offset:3016
.LBB0_11:
	s_or_b32 exec_lo, exec_lo, s1
	v_mad_u64_u32 v[36:37], null, 0x48, v67, s[2:3]
	s_waitcnt lgkmcnt(0)
	s_barrier
	buffer_gl0_inv
	v_add_nc_u32_e32 v52, 0x800, v72
	v_lshl_add_u32 v71, v67, 3, v69
	s_clause 0x4
	global_load_dwordx4 v[32:35], v[36:37], off offset:208
	global_load_dwordx4 v[28:31], v[36:37], off offset:224
	;; [unrolled: 1-line block ×4, first 2 shown]
	global_load_dwordx2 v[61:62], v[36:37], off offset:272
	ds_read2_b64 v[40:43], v72 offset1:39
	ds_read_b64 v[36:37], v72 offset:624
	ds_read2_b64 v[44:47], v72 offset0:117 offset1:156
	ds_read2_b64 v[48:51], v72 offset0:195 offset1:234
	;; [unrolled: 1-line block ×3, first 2 shown]
	ds_read_b64 v[57:58], v72 offset:2808
	v_add_nc_u32_e32 v56, 0x800, v71
	s_waitcnt vmcnt(4) lgkmcnt(5)
	v_mul_f32_e32 v59, v43, v33
	v_mul_f32_e32 v65, v42, v33
	s_waitcnt lgkmcnt(4)
	v_mul_f32_e32 v63, v37, v35
	v_mul_f32_e32 v64, v36, v35
	s_waitcnt vmcnt(3) lgkmcnt(3)
	v_mul_f32_e32 v66, v45, v29
	v_mul_f32_e32 v77, v44, v29
	v_mul_f32_e32 v78, v47, v31
	v_mul_f32_e32 v79, v46, v31
	s_waitcnt vmcnt(2) lgkmcnt(2)
	v_mul_f32_e32 v80, v49, v25
	v_mul_f32_e32 v81, v48, v25
	;; [unrolled: 5-line block ×4, first 2 shown]
	v_fma_f32 v42, v42, v32, -v59
	v_fmac_f32_e32 v65, v43, v32
	v_fma_f32 v36, v36, v34, -v63
	v_fmac_f32_e32 v64, v37, v34
	v_fma_f32 v37, v44, v28, -v66
	v_fmac_f32_e32 v77, v45, v28
	v_fma_f32 v43, v46, v30, -v78
	v_fmac_f32_e32 v79, v47, v30
	v_fma_f32 v44, v48, v24, -v80
	v_fmac_f32_e32 v81, v49, v24
	v_fma_f32 v45, v50, v26, -v82
	v_fmac_f32_e32 v83, v51, v26
	v_fma_f32 v46, v52, v16, -v84
	v_fmac_f32_e32 v85, v53, v16
	v_fma_f32 v47, v54, v18, -v86
	v_fmac_f32_e32 v87, v55, v18
	v_fma_f32 v48, v57, v61, -v88
	v_fmac_f32_e32 v89, v58, v61
	v_add_f32_e32 v49, v40, v36
	v_add_f32_e32 v50, v43, v45
	v_sub_f32_e32 v53, v36, v43
	v_sub_f32_e32 v54, v47, v45
	v_add_f32_e32 v59, v41, v64
	v_sub_f32_e32 v78, v64, v79
	v_sub_f32_e32 v80, v87, v83
	v_add_f32_e32 v86, v42, v37
	v_add_f32_e32 v88, v44, v46
	;; [unrolled: 1-line block ×5, first 2 shown]
	v_sub_f32_e32 v51, v64, v87
	v_add_f32_e32 v55, v36, v47
	v_sub_f32_e32 v57, v43, v36
	v_sub_f32_e32 v58, v45, v47
	v_add_f32_e32 v63, v79, v83
	v_sub_f32_e32 v66, v43, v45
	v_add_f32_e32 v82, v64, v87
	v_sub_f32_e32 v64, v79, v64
	v_sub_f32_e32 v84, v83, v87
	;; [unrolled: 1-line block ×6, first 2 shown]
	v_add_f32_e32 v97, v65, v77
	v_sub_f32_e32 v37, v37, v48
	v_sub_f32_e32 v99, v44, v46
	v_add_f32_e32 v43, v49, v43
	v_fma_f32 v104, -0.5, v50, v40
	v_add_f32_e32 v49, v53, v54
	v_add_f32_e32 v50, v59, v79
	;; [unrolled: 1-line block ×4, first 2 shown]
	v_fma_f32 v54, -0.5, v88, v42
	v_fmac_f32_e32 v42, -0.5, v94
	v_fma_f32 v78, -0.5, v98, v65
	v_fmac_f32_e32 v65, -0.5, v102
	v_sub_f32_e32 v52, v79, v83
	v_sub_f32_e32 v93, v48, v46
	;; [unrolled: 1-line block ×7, first 2 shown]
	v_fma_f32 v105, -0.5, v55, v40
	v_add_f32_e32 v40, v57, v58
	v_fma_f32 v57, -0.5, v63, v41
	v_fma_f32 v58, -0.5, v82, v41
	v_add_f32_e32 v41, v64, v84
	v_add_f32_e32 v63, v97, v81
	;; [unrolled: 1-line block ×4, first 2 shown]
	v_fmamk_f32 v46, v90, 0x3f737871, v54
	v_fmac_f32_e32 v54, 0xbf737871, v90
	v_fmamk_f32 v82, v91, 0xbf737871, v42
	v_fmac_f32_e32 v42, 0x3f737871, v91
	;; [unrolled: 2-line block ×4, first 2 shown]
	v_sub_f32_e32 v36, v36, v47
	v_add_f32_e32 v55, v92, v93
	v_add_f32_e32 v59, v95, v96
	;; [unrolled: 1-line block ×5, first 2 shown]
	v_fmamk_f32 v45, v51, 0x3f737871, v104
	v_fmac_f32_e32 v104, 0xbf737871, v51
	v_fmamk_f32 v79, v52, 0xbf737871, v105
	v_fmac_f32_e32 v105, 0x3f737871, v52
	;; [unrolled: 2-line block ×3, first 2 shown]
	v_add_f32_e32 v63, v63, v85
	v_fmac_f32_e32 v46, 0x3f167918, v91
	v_fmac_f32_e32 v54, 0xbf167918, v91
	;; [unrolled: 1-line block ×8, first 2 shown]
	v_fmamk_f32 v80, v36, 0xbf737871, v57
	v_fmac_f32_e32 v57, 0x3f737871, v36
	v_add_f32_e32 v43, v43, v47
	v_fmac_f32_e32 v45, 0x3f167918, v52
	v_fmac_f32_e32 v104, 0xbf167918, v52
	;; [unrolled: 1-line block ×4, first 2 shown]
	v_add_f32_e32 v47, v50, v87
	v_fmac_f32_e32 v81, 0xbf167918, v36
	v_fmac_f32_e32 v58, 0x3f167918, v36
	v_add_f32_e32 v36, v44, v48
	v_add_f32_e32 v44, v63, v89
	v_fmac_f32_e32 v46, 0x3e9e377a, v55
	v_fmac_f32_e32 v54, 0x3e9e377a, v55
	;; [unrolled: 1-line block ×16, first 2 shown]
	v_add_f32_e32 v63, v43, v36
	v_add_f32_e32 v64, v47, v44
	v_sub_f32_e32 v40, v43, v36
	v_sub_f32_e32 v41, v47, v44
	v_mul_f32_e32 v36, 0x3f167918, v83
	v_mul_f32_e32 v37, 0x3f737871, v84
	;; [unrolled: 1-line block ×8, first 2 shown]
	v_fmac_f32_e32 v80, 0x3e9e377a, v53
	v_fmac_f32_e32 v57, 0x3e9e377a, v53
	;; [unrolled: 1-line block ×4, first 2 shown]
	v_fma_f32 v43, 0x3f737871, v65, -v43
	v_fma_f32 v65, 0x3f167918, v78, -v44
	v_fmac_f32_e32 v47, 0x3f4f1bbd, v83
	v_fmac_f32_e32 v59, 0x3e9e377a, v84
	v_fma_f32 v66, 0xbf737871, v42, -v48
	v_fma_f32 v77, 0xbf167918, v54, -v49
	v_add_f32_e32 v52, v45, v36
	v_add_f32_e32 v54, v79, v37
	;; [unrolled: 1-line block ×8, first 2 shown]
	v_sub_f32_e32 v42, v45, v36
	v_sub_f32_e32 v44, v79, v37
	v_sub_f32_e32 v46, v105, v43
	v_sub_f32_e32 v36, v104, v65
	v_sub_f32_e32 v43, v80, v47
	v_sub_f32_e32 v45, v81, v59
	v_sub_f32_e32 v47, v58, v66
	v_sub_f32_e32 v37, v57, v77
	ds_write_b64 v71, v[63:64]
	ds_write2_b64 v71, v[52:53], v[54:55] offset0:39 offset1:78
	ds_write2_b64 v71, v[48:49], v[50:51] offset0:117 offset1:156
	;; [unrolled: 1-line block ×4, first 2 shown]
	ds_write_b64 v71, v[36:37] offset:2808
	s_waitcnt lgkmcnt(0)
	s_barrier
	buffer_gl0_inv
	s_and_saveexec_b32 s2, vcc_lo
	s_cbranch_execz .LBB0_13
; %bb.12:
	v_add_co_u32 v59, s1, s14, v68
	v_add_co_ci_u32_e64 v78, null, s15, 0, s1
	v_add_co_u32 v57, s1, 0x800, v59
	v_add_co_ci_u32_e64 v58, s1, 0, v78, s1
	v_add_co_u32 v65, s1, 0xc30, v59
	v_add_co_ci_u32_e64 v66, s1, 0, v78, s1
	global_load_dwordx2 v[57:58], v[57:58], off offset:1072
	v_add_co_u32 v77, s1, 0x1000, v59
	s_clause 0x5
	global_load_dwordx2 v[101:102], v[65:66], off offset:240
	global_load_dwordx2 v[103:104], v[65:66], off offset:480
	global_load_dwordx2 v[105:106], v[65:66], off offset:720
	global_load_dwordx2 v[107:108], v[65:66], off offset:960
	global_load_dwordx2 v[109:110], v[65:66], off offset:1200
	global_load_dwordx2 v[111:112], v[65:66], off offset:1440
	v_add_co_ci_u32_e64 v78, s1, 0, v78, s1
	s_clause 0x5
	global_load_dwordx2 v[113:114], v[65:66], off offset:1680
	global_load_dwordx2 v[65:66], v[65:66], off offset:1920
	;; [unrolled: 1-line block ×6, first 2 shown]
	ds_read_b64 v[77:78], v71
	s_waitcnt vmcnt(12) lgkmcnt(0)
	v_mul_f32_e32 v79, v78, v58
	v_mul_f32_e32 v59, v77, v58
	v_fma_f32 v58, v77, v57, -v79
	v_fmac_f32_e32 v59, v78, v57
	ds_write_b64 v71, v[58:59]
	ds_read2_b64 v[77:80], v71 offset0:30 offset1:60
	ds_read2_b64 v[81:84], v71 offset0:90 offset1:120
	;; [unrolled: 1-line block ×6, first 2 shown]
	s_waitcnt vmcnt(11) lgkmcnt(5)
	v_mul_f32_e32 v57, v78, v102
	v_mul_f32_e32 v58, v77, v102
	s_waitcnt vmcnt(10)
	v_mul_f32_e32 v59, v80, v104
	v_mul_f32_e32 v102, v79, v104
	s_waitcnt vmcnt(9) lgkmcnt(4)
	v_mul_f32_e32 v123, v82, v106
	v_mul_f32_e32 v104, v81, v106
	s_waitcnt vmcnt(8)
	v_mul_f32_e32 v124, v84, v108
	v_mul_f32_e32 v106, v83, v108
	;; [unrolled: 6-line block ×6, first 2 shown]
	v_fma_f32 v57, v77, v101, -v57
	v_fmac_f32_e32 v58, v78, v101
	v_fma_f32 v101, v79, v103, -v59
	v_fmac_f32_e32 v102, v80, v103
	;; [unrolled: 2-line block ×12, first 2 shown]
	ds_write2_b64 v71, v[57:58], v[101:102] offset0:30 offset1:60
	ds_write2_b64 v71, v[103:104], v[105:106] offset0:90 offset1:120
	ds_write2_b64 v71, v[107:108], v[109:110] offset0:150 offset1:180
	ds_write2_b64 v71, v[111:112], v[113:114] offset0:210 offset1:240
	ds_write2_b64 v56, v[65:66], v[115:116] offset0:14 offset1:44
	ds_write2_b64 v56, v[117:118], v[119:120] offset0:74 offset1:104
.LBB0_13:
	s_or_b32 exec_lo, exec_lo, s2
	s_waitcnt lgkmcnt(0)
	s_barrier
	buffer_gl0_inv
	s_and_saveexec_b32 s1, vcc_lo
	s_cbranch_execz .LBB0_15
; %bb.14:
	v_add_nc_u32_e32 v0, 0x800, v71
	ds_read_b64 v[63:64], v71
	ds_read2_b64 v[52:55], v71 offset0:30 offset1:60
	ds_read2_b64 v[48:51], v71 offset0:90 offset1:120
	;; [unrolled: 1-line block ×6, first 2 shown]
.LBB0_15:
	s_or_b32 exec_lo, exec_lo, s1
	s_waitcnt lgkmcnt(0)
	v_sub_f32_e32 v88, v53, v3
	v_add_f32_e32 v92, v3, v53
	v_add_f32_e32 v77, v2, v52
	v_sub_f32_e32 v78, v52, v2
	v_sub_f32_e32 v90, v55, v1
	v_mul_f32_e32 v94, 0xbf52af12, v88
	v_mul_f32_e32 v97, 0x3f116cb1, v92
	v_add_f32_e32 v95, v1, v55
	v_mul_f32_e32 v101, 0xbf7e222b, v88
	v_mul_f32_e32 v106, 0x3df6dbef, v92
	;; [unrolled: 1-line block ×3, first 2 shown]
	v_fma_f32 v56, 0x3f116cb1, v77, -v94
	v_fmamk_f32 v57, v78, 0xbf52af12, v97
	v_add_f32_e32 v79, v0, v54
	v_mul_f32_e32 v98, 0xbf6f5d39, v90
	v_sub_f32_e32 v80, v54, v0
	v_mul_f32_e32 v104, 0xbeb58ec6, v95
	v_mul_f32_e32 v119, 0xbeb58ec6, v92
	v_fma_f32 v58, 0x3df6dbef, v77, -v101
	v_fmamk_f32 v59, v78, 0xbf7e222b, v106
	v_add_f32_e32 v56, v63, v56
	v_add_f32_e32 v57, v64, v57
	v_fma_f32 v65, 0xbeb58ec6, v77, -v112
	v_mul_f32_e32 v109, 0xbe750f2a, v90
	v_fma_f32 v81, 0xbeb58ec6, v79, -v98
	v_mul_f32_e32 v114, 0xbf788fa5, v95
	v_mul_f32_e32 v120, 0x3f29c268, v90
	v_fmamk_f32 v82, v80, 0xbf6f5d39, v104
	v_add_f32_e32 v99, v39, v49
	v_add_f32_e32 v58, v63, v58
	;; [unrolled: 1-line block ×3, first 2 shown]
	v_fmamk_f32 v66, v78, 0xbf6f5d39, v119
	v_add_f32_e32 v65, v63, v65
	v_fma_f32 v83, 0xbf788fa5, v79, -v109
	v_add_f32_e32 v56, v81, v56
	v_fmamk_f32 v81, v80, 0xbe750f2a, v114
	v_fma_f32 v84, 0xbf3f9e67, v79, -v120
	v_add_f32_e32 v57, v82, v57
	v_mul_f32_e32 v126, 0xbf3f9e67, v95
	v_sub_f32_e32 v91, v49, v39
	v_sub_f32_e32 v82, v48, v38
	v_mul_f32_e32 v107, 0xbf788fa5, v99
	v_add_f32_e32 v66, v64, v66
	v_add_f32_e32 v58, v83, v58
	;; [unrolled: 1-line block ×4, first 2 shown]
	v_fmamk_f32 v83, v80, 0x3f29c268, v126
	v_add_f32_e32 v81, v38, v48
	v_mul_f32_e32 v105, 0xbe750f2a, v91
	v_mul_f32_e32 v118, 0xbeb58ec6, v99
	v_fmamk_f32 v84, v82, 0xbe750f2a, v107
	v_add_f32_e32 v100, v37, v51
	v_mul_f32_e32 v111, 0x3f6f5d39, v91
	v_add_f32_e32 v66, v83, v66
	v_fma_f32 v83, 0xbf788fa5, v81, -v105
	v_mul_f32_e32 v125, 0x3eedf032, v91
	v_fmamk_f32 v86, v82, 0x3f6f5d39, v118
	v_add_f32_e32 v57, v84, v57
	v_sub_f32_e32 v84, v50, v36
	v_mul_f32_e32 v123, 0x3f62ad3f, v100
	v_fma_f32 v85, 0xbeb58ec6, v81, -v111
	v_add_f32_e32 v56, v83, v56
	v_fma_f32 v83, 0x3f62ad3f, v81, -v125
	v_add_f32_e32 v59, v86, v59
	v_mul_f32_e32 v130, 0x3f62ad3f, v99
	v_sub_f32_e32 v93, v51, v37
	v_fmamk_f32 v96, v84, 0x3eedf032, v123
	v_add_f32_e32 v58, v85, v58
	v_add_f32_e32 v65, v83, v65
	;; [unrolled: 1-line block ×3, first 2 shown]
	v_mul_f32_e32 v110, 0x3f29c268, v93
	v_mul_f32_e32 v113, 0xbf3f9e67, v100
	v_fmamk_f32 v85, v82, 0x3eedf032, v130
	v_add_f32_e32 v59, v96, v59
	v_sub_f32_e32 v96, v41, v47
	v_mul_f32_e32 v116, 0x3eedf032, v93
	v_fma_f32 v86, 0xbf3f9e67, v83, -v110
	v_fmamk_f32 v87, v84, 0x3f29c268, v113
	v_add_f32_e32 v66, v85, v66
	v_mul_f32_e32 v128, 0xbf7e222b, v93
	v_add_f32_e32 v103, v47, v41
	v_add_f32_e32 v85, v46, v40
	v_mul_f32_e32 v115, 0x3f7e222b, v96
	v_fma_f32 v89, 0x3f62ad3f, v83, -v116
	v_add_f32_e32 v56, v86, v56
	v_add_f32_e32 v57, v87, v57
	v_mul_f32_e32 v133, 0x3df6dbef, v100
	v_sub_f32_e32 v86, v40, v46
	v_mul_f32_e32 v117, 0x3df6dbef, v103
	v_fma_f32 v87, 0x3df6dbef, v83, -v128
	v_mul_f32_e32 v122, 0xbf52af12, v96
	v_fma_f32 v102, 0x3df6dbef, v85, -v115
	v_add_f32_e32 v58, v89, v58
	v_fmamk_f32 v89, v84, 0xbf7e222b, v133
	v_fmamk_f32 v108, v86, 0x3f7e222b, v117
	v_add_f32_e32 v65, v87, v65
	v_fma_f32 v87, 0x3f116cb1, v85, -v122
	v_add_f32_e32 v56, v102, v56
	v_mul_f32_e32 v129, 0x3f116cb1, v103
	v_sub_f32_e32 v102, v43, v45
	v_mul_f32_e32 v132, 0x3e750f2a, v96
	v_mul_f32_e32 v136, 0xbf788fa5, v103
	v_add_f32_e32 v66, v89, v66
	v_add_f32_e32 v57, v108, v57
	;; [unrolled: 1-line block ×3, first 2 shown]
	v_fmamk_f32 v58, v86, 0xbf52af12, v129
	v_add_f32_e32 v87, v44, v42
	v_mul_f32_e32 v121, 0x3eedf032, v102
	v_fma_f32 v89, 0xbf788fa5, v85, -v132
	v_fmamk_f32 v124, v86, 0x3e750f2a, v136
	v_add_f32_e32 v108, v45, v43
	v_add_f32_e32 v138, v58, v59
	v_fma_f32 v58, 0x3f62ad3f, v87, -v121
	v_add_f32_e32 v65, v89, v65
	v_add_f32_e32 v66, v124, v66
	v_sub_f32_e32 v89, v42, v44
	v_mul_f32_e32 v124, 0x3f62ad3f, v108
	v_mul_f32_e32 v127, 0xbf29c268, v102
	;; [unrolled: 1-line block ×5, first 2 shown]
	v_add_f32_e32 v58, v58, v56
	v_fmamk_f32 v56, v89, 0x3eedf032, v124
	v_fma_f32 v139, 0xbf3f9e67, v87, -v127
	v_fmamk_f32 v140, v89, 0xbf29c268, v131
	v_fma_f32 v141, 0x3f116cb1, v87, -v134
	v_fmamk_f32 v142, v89, 0x3f52af12, v135
	v_add_f32_e32 v59, v56, v57
	v_add_f32_e32 v56, v139, v137
	v_add_f32_e32 v57, v140, v138
	v_add_f32_e32 v65, v141, v65
	v_add_f32_e32 v66, v142, v66
	s_barrier
	buffer_gl0_inv
	s_and_saveexec_b32 s1, vcc_lo
	s_cbranch_execz .LBB0_17
; %bb.16:
	v_mul_f32_e32 v150, 0xbf788fa5, v92
	v_mul_f32_e32 v154, 0x3f62ad3f, v95
	;; [unrolled: 1-line block ×5, first 2 shown]
	v_fmamk_f32 v137, v78, 0x3e750f2a, v150
	v_fmamk_f32 v138, v80, 0xbeedf032, v154
	;; [unrolled: 1-line block ×3, first 2 shown]
	v_mul_f32_e32 v162, 0x3f116cb1, v100
	v_fmamk_f32 v163, v79, 0x3f62ad3f, v161
	v_add_f32_e32 v137, v64, v137
	v_mul_f32_e32 v164, 0xbf29c268, v91
	v_add_f32_e32 v160, v63, v160
	v_mul_f32_e32 v165, 0xbeb58ec6, v103
	v_mul_f32_e32 v166, 0x3f52af12, v93
	v_add_f32_e32 v137, v138, v137
	v_fmamk_f32 v138, v82, 0x3f29c268, v158
	v_add_f32_e32 v160, v163, v160
	v_fmamk_f32 v163, v81, 0xbf3f9e67, v164
	v_mul_f32_e32 v167, 0x3df6dbef, v108
	v_mul_f32_e32 v168, 0xbf6f5d39, v96
	v_add_f32_e32 v137, v138, v137
	v_fmamk_f32 v138, v84, 0xbf52af12, v162
	v_add_f32_e32 v160, v163, v160
	v_fmamk_f32 v163, v83, 0x3f116cb1, v166
	;; [unrolled: 6-line block ×3, first 2 shown]
	v_fmamk_f32 v171, v78, 0x3f29c268, v169
	v_mul_f32_e32 v173, 0x3f116cb1, v99
	v_add_f32_e32 v137, v138, v137
	v_fmamk_f32 v138, v89, 0xbf7e222b, v167
	v_mul_f32_e32 v176, 0x3f7e222b, v90
	v_mul_f32_e32 v177, 0xbf788fa5, v100
	;; [unrolled: 1-line block ×4, first 2 shown]
	v_add_f32_e32 v138, v138, v137
	v_add_f32_e32 v137, v163, v160
	v_mul_f32_e32 v160, 0xbf29c268, v88
	v_add_f32_e32 v163, v64, v171
	v_fmamk_f32 v171, v80, 0xbf7e222b, v172
	v_fmamk_f32 v178, v79, 0x3df6dbef, v176
	v_mul_f32_e32 v181, 0x3e750f2a, v93
	v_fmamk_f32 v175, v77, 0xbf3f9e67, v160
	v_mul_f32_e32 v139, 0xbf6f5d39, v78
	v_add_f32_e32 v163, v171, v163
	v_fmamk_f32 v171, v82, 0x3f52af12, v173
	v_fmamk_f32 v180, v87, 0x3df6dbef, v174
	v_add_f32_e32 v175, v63, v175
	v_add_f32_e32 v53, v53, v64
	v_mul_f32_e32 v143, 0x3df6dbef, v77
	v_add_f32_e32 v163, v171, v163
	v_fmamk_f32 v171, v84, 0xbe750f2a, v177
	v_add_f32_e32 v175, v178, v175
	v_fmamk_f32 v178, v81, 0x3f116cb1, v179
	v_add_f32_e32 v137, v180, v137
	v_mul_f32_e32 v180, 0x3f62ad3f, v103
	v_add_f32_e32 v163, v171, v163
	v_sub_f32_e32 v119, v119, v139
	v_add_f32_e32 v171, v178, v175
	v_fmamk_f32 v175, v83, 0xbf788fa5, v181
	v_mul_f32_e32 v178, 0x3eedf032, v96
	v_add_f32_e32 v53, v55, v53
	v_add_f32_e32 v52, v52, v63
	v_mul_f32_e32 v142, 0xbf52af12, v78
	v_add_f32_e32 v139, v175, v171
	v_fmamk_f32 v171, v85, 0x3f62ad3f, v178
	v_mul_f32_e32 v175, 0xbf6f5d39, v102
	v_mul_f32_e32 v148, 0xbf788fa5, v79
	;; [unrolled: 1-line block ×3, first 2 shown]
	v_fmamk_f32 v182, v86, 0xbeedf032, v180
	v_mul_f32_e32 v183, 0xbeb58ec6, v108
	v_add_f32_e32 v139, v171, v139
	v_fmamk_f32 v171, v87, 0xbeb58ec6, v175
	v_add_f32_e32 v101, v143, v101
	v_add_f32_e32 v49, v49, v53
	;; [unrolled: 1-line block ×3, first 2 shown]
	v_mul_f32_e32 v147, 0xbf6f5d39, v80
	v_mul_f32_e32 v155, 0xbeb58ec6, v81
	;; [unrolled: 1-line block ×3, first 2 shown]
	v_sub_f32_e32 v126, v126, v140
	v_add_f32_e32 v119, v64, v119
	v_add_f32_e32 v140, v182, v163
	v_fmamk_f32 v163, v89, 0x3f6f5d39, v183
	v_add_f32_e32 v139, v171, v139
	v_mul_f32_e32 v171, 0xbf7e222b, v84
	v_add_f32_e32 v101, v63, v101
	v_add_f32_e32 v109, v148, v109
	v_sub_f32_e32 v97, v97, v142
	v_add_f32_e32 v49, v51, v49
	v_add_f32_e32 v48, v48, v52
	v_mul_f32_e32 v141, 0x3f116cb1, v77
	v_mul_f32_e32 v153, 0xbe750f2a, v82
	v_add_f32_e32 v119, v126, v119
	v_sub_f32_e32 v130, v130, v170
	v_add_f32_e32 v140, v163, v140
	v_mul_f32_e32 v163, 0x3f62ad3f, v83
	v_sub_f32_e32 v133, v133, v171
	v_mul_f32_e32 v171, 0x3e750f2a, v86
	v_add_f32_e32 v101, v109, v101
	v_add_f32_e32 v109, v155, v111
	;; [unrolled: 1-line block ×3, first 2 shown]
	v_sub_f32_e32 v104, v104, v147
	v_add_f32_e32 v41, v41, v49
	v_add_f32_e32 v48, v50, v48
	v_mul_f32_e32 v146, 0xbeb58ec6, v79
	v_mul_f32_e32 v149, 0xbe750f2a, v80
	;; [unrolled: 1-line block ×3, first 2 shown]
	v_add_f32_e32 v119, v130, v119
	v_sub_f32_e32 v136, v136, v171
	v_mul_f32_e32 v171, 0x3f116cb1, v85
	v_add_f32_e32 v101, v109, v101
	v_add_f32_e32 v109, v163, v116
	;; [unrolled: 1-line block ×4, first 2 shown]
	v_sub_f32_e32 v104, v107, v153
	v_add_f32_e32 v41, v43, v41
	v_add_f32_e32 v40, v40, v48
	v_mul_f32_e32 v144, 0xbf7e222b, v78
	v_mul_f32_e32 v152, 0xbf788fa5, v81
	v_add_f32_e32 v119, v133, v119
	v_mul_f32_e32 v133, 0x3f7e222b, v86
	v_sub_f32_e32 v114, v114, v149
	v_mul_f32_e32 v149, 0xbf3f9e67, v87
	v_add_f32_e32 v101, v109, v101
	v_add_f32_e32 v107, v171, v122
	v_add_f32_e32 v94, v63, v94
	v_add_f32_e32 v98, v146, v98
	v_add_f32_e32 v97, v104, v97
	v_sub_f32_e32 v104, v113, v170
	v_add_f32_e32 v41, v45, v41
	v_add_f32_e32 v40, v42, v40
	v_mul_f32_e32 v151, 0xbf3f9e67, v79
	v_mul_f32_e32 v126, 0xbf3f9e67, v83
	v_sub_f32_e32 v106, v106, v144
	v_mul_f32_e32 v144, 0x3eedf032, v89
	v_add_f32_e32 v101, v107, v101
	v_add_f32_e32 v107, v149, v127
	;; [unrolled: 1-line block ×5, first 2 shown]
	v_sub_f32_e32 v104, v117, v133
	v_mul_f32_e32 v92, 0x3f62ad3f, v92
	v_add_f32_e32 v41, v47, v41
	v_add_f32_e32 v44, v44, v40
	;; [unrolled: 1-line block ×3, first 2 shown]
	v_mul_f32_e32 v151, 0x3df6dbef, v85
	v_add_f32_e32 v105, v107, v101
	v_add_f32_e32 v94, v98, v94
	;; [unrolled: 1-line block ×4, first 2 shown]
	v_sub_f32_e32 v101, v124, v144
	v_fmamk_f32 v104, v78, 0x3eedf032, v92
	v_mul_f32_e32 v107, 0x3f116cb1, v95
	v_add_f32_e32 v37, v37, v41
	v_add_f32_e32 v41, v46, v44
	;; [unrolled: 1-line block ×3, first 2 shown]
	v_mul_f32_e32 v136, 0x3f62ad3f, v87
	v_add_f32_e32 v94, v98, v94
	v_add_f32_e32 v98, v151, v115
	;; [unrolled: 1-line block ×4, first 2 shown]
	v_fmamk_f32 v101, v80, 0x3f52af12, v107
	v_mul_f32_e32 v99, 0x3df6dbef, v99
	v_mul_f32_e32 v53, 0xbeedf032, v88
	v_add_f32_e32 v37, v39, v37
	v_add_f32_e32 v36, v36, v41
	v_fmac_f32_e32 v150, 0xbe750f2a, v78
	v_add_f32_e32 v94, v98, v94
	v_add_f32_e32 v98, v136, v121
	;; [unrolled: 1-line block ×3, first 2 shown]
	v_fmamk_f32 v101, v82, 0x3f7e222b, v99
	v_mul_f32_e32 v100, 0xbeb58ec6, v100
	v_fmamk_f32 v51, v77, 0x3f62ad3f, v53
	v_mul_f32_e32 v52, 0xbf52af12, v90
	v_add_f32_e32 v1, v1, v37
	v_add_f32_e32 v36, v38, v36
	;; [unrolled: 1-line block ×3, first 2 shown]
	v_fmac_f32_e32 v154, 0x3eedf032, v80
	v_fma_f32 v38, 0xbf788fa5, v77, -v157
	v_add_f32_e32 v94, v98, v94
	v_add_f32_e32 v55, v101, v97
	v_fmamk_f32 v97, v84, 0x3f6f5d39, v100
	v_mul_f32_e32 v98, 0xbf3f9e67, v103
	v_add_f32_e32 v49, v63, v51
	v_fmamk_f32 v50, v79, 0x3f116cb1, v52
	v_mul_f32_e32 v51, 0xbf7e222b, v91
	v_add_f32_e32 v1, v3, v1
	v_add_f32_e32 v0, v0, v36
	;; [unrolled: 1-line block ×3, first 2 shown]
	v_fmac_f32_e32 v158, 0xbf29c268, v82
	v_add_f32_e32 v36, v63, v38
	v_fma_f32 v37, 0x3f62ad3f, v79, -v161
	v_fmac_f32_e32 v169, 0xbf29c268, v78
	v_add_f32_e32 v54, v97, v55
	v_fmamk_f32 v55, v86, 0x3f29c268, v98
	v_mul_f32_e32 v43, 0xbf788fa5, v108
	v_add_f32_e32 v48, v50, v49
	v_fmamk_f32 v49, v81, 0x3df6dbef, v51
	v_mul_f32_e32 v42, 0xbf6f5d39, v93
	v_add_f32_e32 v0, v2, v0
	v_add_f32_e32 v2, v158, v3
	v_fmac_f32_e32 v162, 0x3f52af12, v84
	v_add_f32_e32 v3, v37, v36
	v_fma_f32 v36, 0xbf3f9e67, v81, -v164
	v_add_f32_e32 v37, v64, v169
	v_fmac_f32_e32 v172, 0x3f7e222b, v80
	v_add_f32_e32 v54, v55, v54
	v_fmamk_f32 v45, v89, 0x3e750f2a, v43
	v_add_f32_e32 v48, v49, v48
	v_fmamk_f32 v47, v83, 0xbeb58ec6, v42
	v_mul_f32_e32 v49, 0xbf29c268, v96
	v_add_f32_e32 v2, v162, v2
	v_fmac_f32_e32 v165, 0xbf6f5d39, v86
	v_add_f32_e32 v3, v36, v3
	v_fma_f32 v36, 0x3f116cb1, v83, -v166
	v_add_f32_e32 v37, v172, v37
	v_fmac_f32_e32 v173, 0xbf52af12, v82
	v_add_f32_e32 v40, v45, v54
	v_add_f32_e32 v44, v47, v48
	v_fmamk_f32 v45, v85, 0xbf3f9e67, v49
	v_mul_f32_e32 v46, 0xbe750f2a, v102
	v_add_f32_e32 v2, v165, v2
	v_fmac_f32_e32 v167, 0x3f7e222b, v89
	v_add_f32_e32 v36, v36, v3
	v_fma_f32 v38, 0xbeb58ec6, v85, -v168
	v_add_f32_e32 v37, v173, v37
	v_fmac_f32_e32 v177, 0x3e750f2a, v84
	v_mul_f32_e32 v145, 0xbeb58ec6, v77
	v_add_f32_e32 v39, v45, v44
	v_fmamk_f32 v41, v87, 0xbf788fa5, v46
	v_add_f32_e32 v3, v167, v2
	v_fma_f32 v2, 0xbf3f9e67, v77, -v160
	v_add_f32_e32 v36, v38, v36
	v_fma_f32 v38, 0x3df6dbef, v87, -v174
	v_add_f32_e32 v37, v177, v37
	v_fmac_f32_e32 v180, 0x3eedf032, v86
	v_add_f32_e32 v112, v145, v112
	v_add_f32_e32 v39, v41, v39
	;; [unrolled: 1-line block ×3, first 2 shown]
	v_fma_f32 v44, 0x3df6dbef, v79, -v176
	v_add_f32_e32 v2, v38, v36
	v_fmac_f32_e32 v92, 0xbeedf032, v78
	v_add_f32_e32 v36, v180, v37
	v_fma_f32 v37, 0x3f62ad3f, v77, -v53
	v_mul_f32_e32 v156, 0x3f6f5d39, v82
	v_add_f32_e32 v106, v64, v106
	v_mul_f32_e32 v159, 0x3f62ad3f, v81
	v_add_f32_e32 v112, v63, v112
	v_add_f32_e32 v38, v44, v41
	v_fma_f32 v41, 0x3f116cb1, v81, -v179
	v_add_f32_e32 v44, v64, v92
	v_fmac_f32_e32 v107, 0xbf52af12, v80
	v_add_f32_e32 v37, v63, v37
	v_fma_f32 v45, 0x3f116cb1, v79, -v52
	v_mul_f32_e32 v130, 0x3eedf032, v84
	v_add_f32_e32 v106, v114, v106
	v_sub_f32_e32 v114, v118, v156
	v_mul_f32_e32 v145, 0x3df6dbef, v83
	v_add_f32_e32 v112, v120, v112
	v_add_f32_e32 v125, v159, v125
	;; [unrolled: 1-line block ×3, first 2 shown]
	v_fma_f32 v41, 0xbf788fa5, v83, -v181
	v_add_f32_e32 v44, v107, v44
	v_fmac_f32_e32 v99, 0xbf7e222b, v82
	v_add_f32_e32 v37, v45, v37
	v_fma_f32 v45, 0x3df6dbef, v81, -v51
	v_mul_f32_e32 v120, 0xbf52af12, v86
	v_add_f32_e32 v106, v114, v106
	v_sub_f32_e32 v114, v123, v130
	v_mul_f32_e32 v159, 0xbf788fa5, v85
	v_add_f32_e32 v112, v125, v112
	v_mul_f32_e32 v125, 0x3f52af12, v89
	v_add_f32_e32 v128, v145, v128
	v_add_f32_e32 v38, v41, v38
	v_fma_f32 v41, 0x3f62ad3f, v85, -v178
	v_add_f32_e32 v44, v99, v44
	v_fmac_f32_e32 v100, 0xbf6f5d39, v84
	v_add_f32_e32 v37, v45, v37
	v_fma_f32 v42, 0xbeb58ec6, v83, -v42
	v_mul_f32_e32 v145, 0xbf29c268, v89
	v_add_f32_e32 v106, v114, v106
	v_sub_f32_e32 v114, v129, v120
	v_sub_f32_e32 v125, v135, v125
	v_mul_f32_e32 v135, 0x3f116cb1, v87
	v_add_f32_e32 v112, v128, v112
	v_add_f32_e32 v118, v159, v132
	v_add_f32_e32 v38, v41, v38
	v_add_f32_e32 v41, v100, v44
	v_fmac_f32_e32 v98, 0xbf29c268, v86
	v_add_f32_e32 v37, v42, v37
	v_fma_f32 v42, 0xbf3f9e67, v85, -v49
	v_and_b32_e32 v45, 0xffff, v70
	v_add_f32_e32 v106, v114, v106
	v_sub_f32_e32 v111, v131, v145
	v_add_f32_e32 v112, v118, v112
	v_add_f32_e32 v118, v135, v134
	v_fmac_f32_e32 v183, 0xbf6f5d39, v89
	v_fma_f32 v44, 0xbeb58ec6, v87, -v175
	v_add_f32_e32 v41, v98, v41
	v_fmac_f32_e32 v43, 0xbe750f2a, v89
	v_add_f32_e32 v47, v42, v37
	v_fma_f32 v46, 0xbf788fa5, v87, -v46
	v_lshl_add_u32 v45, v45, 3, v69
	v_add_f32_e32 v106, v111, v106
	v_add_f32_e32 v119, v125, v119
	;; [unrolled: 1-line block ×7, first 2 shown]
	ds_write2_b64 v45, v[0:1], v[39:40] offset1:1
	ds_write2_b64 v45, v[94:95], v[105:106] offset0:2 offset1:3
	ds_write2_b64 v45, v[118:119], v[139:140] offset0:4 offset1:5
	;; [unrolled: 1-line block ×5, first 2 shown]
	ds_write_b64 v45, v[41:42] offset:96
.LBB0_17:
	s_or_b32 exec_lo, exec_lo, s1
	v_add_nc_u32_e32 v40, 0x800, v72
	s_waitcnt lgkmcnt(0)
	s_barrier
	buffer_gl0_inv
	ds_read2_b64 v[36:39], v72 offset1:39
	ds_read2_b64 v[0:3], v72 offset0:78 offset1:130
	ds_read2_b64 v[44:47], v40 offset0:4 offset1:43
	;; [unrolled: 1-line block ×3, first 2 shown]
	ds_read_b64 v[48:49], v72 offset:2704
	s_and_saveexec_b32 s1, s0
	s_cbranch_execz .LBB0_19
; %bb.18:
	v_add_nc_u32_e32 v50, 0x400, v72
	ds_read_b64 v[65:66], v72 offset:936
	ds_read2_b64 v[56:59], v50 offset0:119 offset1:249
.LBB0_19:
	s_or_b32 exec_lo, exec_lo, s1
	s_waitcnt lgkmcnt(3)
	v_mul_f32_e32 v50, v21, v3
	v_mul_f32_e32 v21, v21, v2
	s_waitcnt lgkmcnt(2)
	v_mul_f32_e32 v51, v23, v45
	v_mul_f32_e32 v23, v23, v44
	s_waitcnt lgkmcnt(0)
	v_fmac_f32_e32 v50, v20, v2
	v_mul_f32_e32 v2, v13, v40
	v_fma_f32 v3, v20, v3, -v21
	v_mul_f32_e32 v20, v13, v41
	v_fmac_f32_e32 v51, v22, v44
	v_fma_f32 v13, v22, v45, -v23
	v_fma_f32 v22, v12, v41, -v2
	v_mul_f32_e32 v23, v9, v43
	v_mul_f32_e32 v2, v9, v42
	;; [unrolled: 1-line block ×5, first 2 shown]
	v_fmac_f32_e32 v23, v8, v42
	v_fma_f32 v41, v8, v43, -v2
	v_add_f32_e32 v2, v50, v51
	v_fma_f32 v42, v10, v49, -v9
	v_add_f32_e32 v9, v3, v13
	v_fmac_f32_e32 v20, v12, v40
	v_fmac_f32_e32 v21, v14, v46
	v_fma_f32 v15, v14, v47, -v15
	v_mul_f32_e32 v40, v11, v49
	v_fma_f32 v2, -0.5, v2, v36
	v_sub_f32_e32 v11, v3, v13
	v_add_f32_e32 v12, v37, v3
	v_fma_f32 v3, -0.5, v9, v37
	v_sub_f32_e32 v14, v50, v51
	v_fmac_f32_e32 v40, v10, v48
	v_fmamk_f32 v10, v11, 0xbf5db3d7, v2
	v_fmac_f32_e32 v2, 0x3f5db3d7, v11
	v_add_f32_e32 v9, v12, v13
	v_add_f32_e32 v12, v20, v21
	v_fmamk_f32 v11, v14, 0x3f5db3d7, v3
	v_add_f32_e32 v13, v38, v20
	v_fmac_f32_e32 v3, 0xbf5db3d7, v14
	v_add_f32_e32 v14, v22, v15
	v_fma_f32 v38, -0.5, v12, v38
	v_sub_f32_e32 v20, v20, v21
	v_add_f32_e32 v12, v13, v21
	v_add_f32_e32 v13, v39, v22
	v_fmac_f32_e32 v39, -0.5, v14
	v_add_f32_e32 v8, v36, v50
	v_sub_f32_e32 v36, v22, v15
	v_add_f32_e32 v21, v23, v40
	v_add_f32_e32 v13, v13, v15
	v_fmamk_f32 v15, v20, 0x3f5db3d7, v39
	v_fmac_f32_e32 v39, 0xbf5db3d7, v20
	v_add_f32_e32 v20, v41, v42
	v_fmamk_f32 v14, v36, 0xbf5db3d7, v38
	v_fmac_f32_e32 v38, 0x3f5db3d7, v36
	v_add_f32_e32 v22, v0, v23
	v_fma_f32 v0, -0.5, v21, v0
	v_sub_f32_e32 v21, v41, v42
	v_add_f32_e32 v36, v1, v41
	v_fmac_f32_e32 v1, -0.5, v20
	v_sub_f32_e32 v37, v23, v40
	v_add_f32_e32 v8, v8, v51
	v_add_f32_e32 v20, v22, v40
	v_fmamk_f32 v22, v21, 0xbf5db3d7, v0
	v_fmac_f32_e32 v0, 0x3f5db3d7, v21
	v_add_f32_e32 v21, v36, v42
	v_fmamk_f32 v23, v37, 0x3f5db3d7, v1
	v_fmac_f32_e32 v1, 0xbf5db3d7, v37
	s_barrier
	buffer_gl0_inv
	ds_write2_b64 v75, v[8:9], v[10:11] offset1:13
	ds_write_b64 v75, v[2:3] offset:208
	ds_write2_b64 v74, v[12:13], v[14:15] offset1:13
	ds_write_b64 v74, v[38:39] offset:208
	;; [unrolled: 2-line block ×3, first 2 shown]
	s_and_saveexec_b32 s1, s0
	s_cbranch_execz .LBB0_21
; %bb.20:
	v_mul_f32_e32 v0, v5, v56
	v_mul_f32_e32 v1, v7, v58
	;; [unrolled: 1-line block ×4, first 2 shown]
	v_fma_f32 v0, v4, v57, -v0
	v_fma_f32 v3, v6, v59, -v1
	v_fmac_f32_e32 v2, v4, v56
	v_fmac_f32_e32 v7, v6, v58
	v_lshl_add_u32 v6, v76, 3, v69
	v_add_f32_e32 v5, v66, v0
	v_add_f32_e32 v1, v0, v3
	v_sub_f32_e32 v9, v0, v3
	v_add_f32_e32 v4, v2, v7
	v_sub_f32_e32 v8, v2, v7
	v_add_f32_e32 v2, v65, v2
	v_fma_f32 v1, -0.5, v1, v66
	v_add_f32_e32 v3, v5, v3
	v_fma_f32 v0, -0.5, v4, v65
	v_add_f32_e32 v2, v2, v7
	v_fmamk_f32 v5, v8, 0xbf5db3d7, v1
	v_fmac_f32_e32 v1, 0x3f5db3d7, v8
	v_fmamk_f32 v4, v9, 0x3f5db3d7, v0
	v_add_nc_u32_e32 v7, 0x800, v6
	v_fmac_f32_e32 v0, 0xbf5db3d7, v9
	ds_write2_b64 v7, v[2:3], v[0:1] offset0:95 offset1:108
	ds_write_b64 v6, v[4:5] offset:3016
.LBB0_21:
	s_or_b32 exec_lo, exec_lo, s1
	s_waitcnt lgkmcnt(0)
	s_barrier
	buffer_gl0_inv
	ds_read2_b64 v[0:3], v72 offset1:39
	ds_read_b64 v[20:21], v72 offset:624
	ds_read2_b64 v[4:7], v72 offset0:117 offset1:156
	ds_read2_b64 v[8:11], v72 offset0:195 offset1:234
	v_add_nc_u32_e32 v12, 0x800, v72
	ds_read_b64 v[22:23], v72 offset:2808
	ds_read2_b64 v[12:15], v12 offset0:17 offset1:56
	s_waitcnt lgkmcnt(5)
	v_mul_f32_e32 v36, v33, v3
	s_waitcnt lgkmcnt(4)
	v_mul_f32_e32 v37, v35, v21
	;; [unrolled: 2-line block ×3, first 2 shown]
	v_mul_f32_e32 v29, v29, v4
	v_mul_f32_e32 v39, v31, v7
	;; [unrolled: 1-line block ×4, first 2 shown]
	s_waitcnt lgkmcnt(2)
	v_mul_f32_e32 v40, v25, v9
	v_fmac_f32_e32 v37, v34, v20
	v_fmac_f32_e32 v38, v28, v4
	v_fma_f32 v4, v28, v5, -v29
	v_fmac_f32_e32 v39, v30, v6
	v_fma_f32 v5, v30, v7, -v31
	v_mul_f32_e32 v6, v25, v8
	v_mul_f32_e32 v7, v27, v11
	s_waitcnt lgkmcnt(0)
	v_mul_f32_e32 v20, v17, v13
	v_mul_f32_e32 v33, v33, v2
	v_fmac_f32_e32 v40, v24, v8
	v_mul_f32_e32 v8, v27, v10
	v_fma_f32 v6, v24, v9, -v6
	v_fmac_f32_e32 v7, v26, v10
	v_mul_f32_e32 v9, v19, v14
	v_fmac_f32_e32 v20, v16, v12
	v_mul_f32_e32 v10, v17, v12
	v_mul_f32_e32 v12, v19, v15
	v_fmac_f32_e32 v36, v32, v2
	v_fma_f32 v2, v32, v3, -v33
	v_fma_f32 v3, v34, v21, -v35
	v_fma_f32 v8, v26, v11, -v8
	v_add_f32_e32 v11, v39, v7
	v_fma_f32 v9, v18, v15, -v9
	v_fmac_f32_e32 v12, v18, v14
	v_mul_f32_e32 v15, v62, v23
	v_add_f32_e32 v17, v0, v37
	v_fma_f32 v19, -0.5, v11, v0
	v_sub_f32_e32 v11, v3, v9
	v_add_f32_e32 v21, v37, v12
	v_fma_f32 v10, v16, v13, -v10
	v_fmac_f32_e32 v15, v61, v22
	v_add_f32_e32 v13, v17, v39
	v_fmamk_f32 v14, v11, 0xbf737871, v19
	v_sub_f32_e32 v16, v5, v8
	v_sub_f32_e32 v17, v37, v39
	v_sub_f32_e32 v18, v12, v7
	v_mul_f32_e32 v22, v62, v22
	v_fma_f32 v0, -0.5, v21, v0
	v_fmac_f32_e32 v19, 0x3f737871, v11
	v_add_f32_e32 v13, v13, v7
	v_fmac_f32_e32 v14, 0xbf167918, v16
	v_add_f32_e32 v17, v17, v18
	v_fma_f32 v18, v61, v23, -v22
	v_fmamk_f32 v21, v16, 0x3f737871, v0
	v_sub_f32_e32 v22, v39, v37
	v_sub_f32_e32 v23, v7, v12
	v_fmac_f32_e32 v19, 0x3f167918, v16
	v_add_f32_e32 v24, v1, v3
	v_add_f32_e32 v25, v5, v8
	v_fmac_f32_e32 v0, 0xbf737871, v16
	v_add_f32_e32 v13, v13, v12
	v_fmac_f32_e32 v14, 0x3e9e377a, v17
	v_fmac_f32_e32 v21, 0xbf167918, v11
	v_add_f32_e32 v22, v22, v23
	v_add_f32_e32 v16, v24, v5
	v_fma_f32 v23, -0.5, v25, v1
	v_sub_f32_e32 v12, v37, v12
	v_fmac_f32_e32 v19, 0x3e9e377a, v17
	v_fmac_f32_e32 v0, 0x3f167918, v11
	v_add_f32_e32 v17, v3, v9
	v_fmac_f32_e32 v21, 0x3e9e377a, v22
	v_add_f32_e32 v11, v16, v8
	v_fmamk_f32 v16, v12, 0x3f737871, v23
	v_sub_f32_e32 v7, v39, v7
	v_sub_f32_e32 v24, v3, v5
	;; [unrolled: 1-line block ×3, first 2 shown]
	v_fmac_f32_e32 v0, 0x3e9e377a, v22
	v_fma_f32 v22, -0.5, v17, v1
	v_fmac_f32_e32 v23, 0xbf737871, v12
	v_sub_f32_e32 v3, v5, v3
	v_sub_f32_e32 v5, v8, v9
	v_add_f32_e32 v8, v36, v38
	v_fmac_f32_e32 v16, 0x3f167918, v7
	v_add_f32_e32 v1, v24, v25
	v_fmamk_f32 v24, v7, 0xbf737871, v22
	v_fmac_f32_e32 v23, 0xbf167918, v7
	v_add_f32_e32 v3, v3, v5
	v_fmac_f32_e32 v22, 0x3f737871, v7
	v_add_f32_e32 v5, v8, v40
	v_add_f32_e32 v7, v40, v20
	v_fmac_f32_e32 v16, 0x3e9e377a, v1
	v_fmac_f32_e32 v24, 0x3f167918, v12
	;; [unrolled: 1-line block ×4, first 2 shown]
	v_add_f32_e32 v1, v5, v20
	v_fma_f32 v8, -0.5, v7, v36
	v_add_f32_e32 v5, v38, v15
	v_sub_f32_e32 v7, v4, v18
	v_add_f32_e32 v26, v11, v9
	v_fmac_f32_e32 v24, 0x3e9e377a, v3
	v_fmac_f32_e32 v22, 0x3e9e377a, v3
	v_add_f32_e32 v11, v1, v15
	v_sub_f32_e32 v1, v6, v10
	v_fmac_f32_e32 v36, -0.5, v5
	v_fmamk_f32 v12, v7, 0xbf737871, v8
	v_sub_f32_e32 v3, v38, v40
	v_sub_f32_e32 v5, v15, v20
	v_fmac_f32_e32 v8, 0x3f737871, v7
	v_fmamk_f32 v17, v1, 0x3f737871, v36
	v_fmac_f32_e32 v12, 0xbf167918, v1
	v_sub_f32_e32 v9, v40, v38
	v_add_f32_e32 v3, v3, v5
	v_fmac_f32_e32 v8, 0x3f167918, v1
	v_sub_f32_e32 v25, v20, v15
	v_fmac_f32_e32 v36, 0xbf737871, v1
	v_add_f32_e32 v1, v6, v10
	v_fmac_f32_e32 v12, 0x3e9e377a, v3
	v_fmac_f32_e32 v8, 0x3e9e377a, v3
	v_add_f32_e32 v3, v4, v18
	v_fmac_f32_e32 v17, 0xbf167918, v7
	v_add_f32_e32 v5, v9, v25
	v_fmac_f32_e32 v36, 0x3f167918, v7
	v_fma_f32 v9, -0.5, v1, v2
	v_sub_f32_e32 v1, v38, v15
	v_add_f32_e32 v7, v2, v4
	v_sub_f32_e32 v15, v40, v20
	v_fmac_f32_e32 v2, -0.5, v3
	v_sub_f32_e32 v3, v4, v6
	v_sub_f32_e32 v4, v6, v4
	;; [unrolled: 1-line block ×3, first 2 shown]
	v_fmac_f32_e32 v17, 0x3e9e377a, v5
	v_fmamk_f32 v25, v15, 0xbf737871, v2
	v_fmac_f32_e32 v2, 0x3f737871, v15
	v_fmac_f32_e32 v36, 0x3e9e377a, v5
	v_fmamk_f32 v20, v1, 0x3f737871, v9
	v_sub_f32_e32 v5, v18, v10
	v_fmac_f32_e32 v9, 0xbf737871, v1
	v_add_f32_e32 v4, v4, v27
	v_fmac_f32_e32 v2, 0xbf167918, v1
	v_fmac_f32_e32 v20, 0x3f167918, v15
	v_add_f32_e32 v3, v3, v5
	v_fmac_f32_e32 v25, 0x3f167918, v1
	;; [unrolled: 3-line block ×3, first 2 shown]
	v_fmac_f32_e32 v20, 0x3e9e377a, v3
	v_fmac_f32_e32 v25, 0x3e9e377a, v4
	;; [unrolled: 1-line block ×3, first 2 shown]
	v_add_f32_e32 v1, v1, v10
	v_mul_f32_e32 v28, 0xbf737871, v2
	v_mul_f32_e32 v15, 0xbf167918, v20
	;; [unrolled: 1-line block ×8, first 2 shown]
	v_add_f32_e32 v18, v1, v18
	v_fmac_f32_e32 v28, 0xbe9e377a, v36
	v_fmac_f32_e32 v15, 0x3f4f1bbd, v12
	;; [unrolled: 1-line block ×8, first 2 shown]
	v_add_f32_e32 v1, v13, v11
	v_add_f32_e32 v7, v0, v28
	;; [unrolled: 1-line block ×3, first 2 shown]
	v_sub_f32_e32 v17, v0, v28
	v_add_nc_u32_e32 v0, 0x800, v71
	v_add_f32_e32 v3, v14, v15
	v_add_f32_e32 v5, v21, v27
	;; [unrolled: 1-line block ×7, first 2 shown]
	v_sub_f32_e32 v11, v13, v11
	v_sub_f32_e32 v13, v14, v15
	;; [unrolled: 1-line block ×9, first 2 shown]
	ds_write_b64 v71, v[1:2]
	ds_write2_b64 v71, v[3:4], v[5:6] offset0:39 offset1:78
	ds_write2_b64 v71, v[7:8], v[9:10] offset0:117 offset1:156
	;; [unrolled: 1-line block ×4, first 2 shown]
	ds_write_b64 v71, v[19:20] offset:2808
	s_waitcnt lgkmcnt(0)
	s_barrier
	buffer_gl0_inv
	s_and_b32 exec_lo, exec_lo, vcc_lo
	s_cbranch_execz .LBB0_23
; %bb.22:
	s_clause 0x8
	global_load_dwordx2 v[25:26], v68, s[14:15]
	global_load_dwordx2 v[27:28], v68, s[14:15] offset:240
	global_load_dwordx2 v[29:30], v68, s[14:15] offset:480
	;; [unrolled: 1-line block ×8, first 2 shown]
	v_add_co_u32 v1, s0, s14, v68
	v_add_co_ci_u32_e64 v2, null, s15, 0, s0
	v_mad_u64_u32 v[3:4], null, s4, v67, 0
	v_add_co_u32 v43, vcc_lo, 0x800, v1
	v_add_co_ci_u32_e32 v44, vcc_lo, 0, v2, vcc_lo
	v_mad_u64_u32 v[1:2], null, s6, v60, 0
	s_clause 0x2
	global_load_dwordx2 v[45:46], v[43:44], off offset:112
	global_load_dwordx2 v[47:48], v[43:44], off offset:352
	;; [unrolled: 1-line block ×3, first 2 shown]
	ds_read2_b64 v[13:16], v71 offset0:210 offset1:240
	ds_read_b64 v[55:56], v71
	ds_read2_b64 v[9:12], v71 offset0:150 offset1:180
	ds_read2_b64 v[17:20], v0 offset0:14 offset1:44
	v_mad_u64_u32 v[5:6], null, s7, v60, v[2:3]
	ds_read2_b64 v[21:24], v0 offset0:74 offset1:104
	s_mul_i32 s0, s5, 0xf0
	s_mul_hi_u32 s1, s4, 0xf0
	s_mul_i32 s2, s4, 0xf0
	s_add_i32 s3, s1, s0
	s_mov_b32 s0, 0x15015015
	v_mad_u64_u32 v[6:7], null, s5, v67, v[4:5]
	v_mov_b32_e32 v2, v5
	s_mov_b32 s1, 0x3f650150
	v_lshlrev_b64 v[1:2], 3, v[1:2]
	v_mov_b32_e32 v4, v6
	ds_read2_b64 v[5:8], v71 offset0:90 offset1:120
	v_lshlrev_b64 v[3:4], 3, v[3:4]
	v_add_co_u32 v1, vcc_lo, s12, v1
	v_add_co_ci_u32_e32 v2, vcc_lo, s13, v2, vcc_lo
	v_add_co_u32 v51, vcc_lo, v1, v3
	v_add_co_ci_u32_e32 v52, vcc_lo, v2, v4, vcc_lo
	ds_read2_b64 v[1:4], v71 offset0:30 offset1:60
	v_add_co_u32 v53, vcc_lo, v51, s2
	v_add_co_ci_u32_e32 v54, vcc_lo, s3, v52, vcc_lo
	v_add_co_u32 v57, vcc_lo, v53, s2
	v_add_co_ci_u32_e32 v58, vcc_lo, s3, v54, vcc_lo
	;; [unrolled: 2-line block ×9, first 2 shown]
	s_waitcnt vmcnt(11) lgkmcnt(5)
	v_mul_f32_e32 v0, v56, v26
	v_mul_f32_e32 v26, v55, v26
	s_waitcnt vmcnt(10) lgkmcnt(0)
	v_mul_f32_e32 v73, v2, v28
	v_mul_f32_e32 v28, v1, v28
	s_waitcnt vmcnt(9)
	v_mul_f32_e32 v74, v4, v30
	v_mul_f32_e32 v30, v3, v30
	s_waitcnt vmcnt(8)
	v_mul_f32_e32 v75, v6, v32
	v_mul_f32_e32 v32, v5, v32
	s_waitcnt vmcnt(3)
	v_mul_f32_e32 v80, v16, v42
	v_mul_f32_e32 v42, v15, v42
	;; [unrolled: 1-line block ×6, first 2 shown]
	v_fma_f32 v16, v41, v16, -v42
	v_fmac_f32_e32 v0, v55, v25
	v_fma_f32 v25, v25, v56, -v26
	v_fmac_f32_e32 v73, v1, v27
	v_mul_f32_e32 v78, v12, v38
	v_mul_f32_e32 v38, v11, v38
	v_fma_f32 v26, v27, v2, -v28
	v_fmac_f32_e32 v74, v3, v29
	v_mul_f32_e32 v79, v14, v40
	v_mul_f32_e32 v40, v13, v40
	v_fma_f32 v27, v29, v4, -v30
	v_fmac_f32_e32 v75, v5, v31
	v_fma_f32 v28, v31, v6, -v32
	v_fmac_f32_e32 v76, v7, v33
	v_fma_f32 v29, v33, v8, -v34
	v_cvt_f64_f32_e32 v[55:56], v16
	s_waitcnt vmcnt(2)
	v_mul_f32_e32 v16, v18, v46
	v_mul_f32_e32 v46, v17, v46
	v_fmac_f32_e32 v77, v9, v35
	v_fma_f32 v31, v35, v10, -v36
	v_cvt_f64_f32_e32 v[0:1], v0
	v_cvt_f64_f32_e32 v[2:3], v25
	;; [unrolled: 1-line block ×3, first 2 shown]
	s_waitcnt vmcnt(1)
	v_mul_f32_e32 v73, v20, v48
	v_mul_f32_e32 v48, v19, v48
	v_fmac_f32_e32 v78, v11, v37
	v_fma_f32 v35, v37, v12, -v38
	v_cvt_f64_f32_e32 v[6:7], v26
	v_cvt_f64_f32_e32 v[8:9], v74
	s_waitcnt vmcnt(0)
	v_mul_f32_e32 v74, v22, v50
	v_mul_f32_e32 v50, v21, v50
	v_fmac_f32_e32 v79, v13, v39
	v_fma_f32 v39, v39, v14, -v40
	v_cvt_f64_f32_e32 v[10:11], v27
	v_fmac_f32_e32 v80, v15, v41
	v_cvt_f64_f32_e32 v[12:13], v75
	v_cvt_f64_f32_e32 v[14:15], v28
	;; [unrolled: 1-line block ×4, first 2 shown]
	v_fmac_f32_e32 v16, v17, v45
	v_fma_f32 v18, v45, v18, -v46
	v_cvt_f64_f32_e32 v[29:30], v77
	v_cvt_f64_f32_e32 v[31:32], v31
	v_fmac_f32_e32 v73, v19, v47
	v_fma_f32 v45, v47, v20, -v48
	v_cvt_f64_f32_e32 v[33:34], v78
	v_cvt_f64_f32_e32 v[35:36], v35
	;; [unrolled: 4-line block ×3, first 2 shown]
	v_cvt_f64_f32_e32 v[41:42], v80
	v_cvt_f64_f32_e32 v[16:17], v16
	v_cvt_f64_f32_e32 v[18:19], v18
	v_cvt_f64_f32_e32 v[20:21], v73
	v_cvt_f64_f32_e32 v[45:46], v45
	v_cvt_f64_f32_e32 v[47:48], v74
	v_cvt_f64_f32_e32 v[49:50], v22
	v_mul_f64 v[0:1], v[0:1], s[0:1]
	v_mul_f64 v[2:3], v[2:3], s[0:1]
	;; [unrolled: 1-line block ×24, first 2 shown]
	v_cvt_f32_f64_e32 v0, v[0:1]
	v_cvt_f32_f64_e32 v1, v[2:3]
	v_cvt_f32_f64_e32 v2, v[4:5]
	v_cvt_f32_f64_e32 v3, v[6:7]
	v_cvt_f32_f64_e32 v4, v[8:9]
	v_cvt_f32_f64_e32 v5, v[10:11]
	v_cvt_f32_f64_e32 v6, v[12:13]
	v_cvt_f32_f64_e32 v7, v[14:15]
	v_cvt_f32_f64_e32 v8, v[25:26]
	v_cvt_f32_f64_e32 v9, v[27:28]
	v_cvt_f32_f64_e32 v10, v[29:30]
	v_cvt_f32_f64_e32 v11, v[31:32]
	v_cvt_f32_f64_e32 v12, v[33:34]
	v_cvt_f32_f64_e32 v13, v[35:36]
	v_cvt_f32_f64_e32 v14, v[37:38]
	v_cvt_f32_f64_e32 v15, v[39:40]
	v_cvt_f32_f64_e32 v25, v[41:42]
	v_cvt_f32_f64_e32 v26, v[55:56]
	v_cvt_f32_f64_e32 v16, v[16:17]
	v_cvt_f32_f64_e32 v17, v[18:19]
	v_cvt_f32_f64_e32 v18, v[20:21]
	v_cvt_f32_f64_e32 v19, v[45:46]
	v_cvt_f32_f64_e32 v20, v[47:48]
	v_cvt_f32_f64_e32 v21, v[49:50]
	v_add_co_u32 v27, vcc_lo, v71, s2
	v_add_co_ci_u32_e32 v28, vcc_lo, s3, v72, vcc_lo
	v_add_co_u32 v29, vcc_lo, v27, s2
	v_add_co_ci_u32_e32 v30, vcc_lo, s3, v28, vcc_lo
	global_store_dwordx2 v[51:52], v[0:1], off
	global_store_dwordx2 v[53:54], v[2:3], off
	;; [unrolled: 1-line block ×12, first 2 shown]
	global_load_dwordx2 v[0:1], v[43:44], off offset:832
	s_waitcnt vmcnt(0)
	v_mul_f32_e32 v2, v24, v1
	v_mul_f32_e32 v1, v23, v1
	v_fmac_f32_e32 v2, v23, v0
	v_fma_f32 v3, v0, v24, -v1
	v_cvt_f64_f32_e32 v[0:1], v2
	v_cvt_f64_f32_e32 v[2:3], v3
	v_mul_f64 v[0:1], v[0:1], s[0:1]
	v_mul_f64 v[2:3], v[2:3], s[0:1]
	v_cvt_f32_f64_e32 v0, v[0:1]
	v_cvt_f32_f64_e32 v1, v[2:3]
	v_add_co_u32 v2, vcc_lo, v29, s2
	v_add_co_ci_u32_e32 v3, vcc_lo, s3, v30, vcc_lo
	global_store_dwordx2 v[2:3], v[0:1], off
.LBB0_23:
	s_endpgm
	.section	.rodata,"a",@progbits
	.p2align	6, 0x0
	.amdhsa_kernel bluestein_single_back_len390_dim1_sp_op_CI_CI
		.amdhsa_group_segment_fixed_size 9360
		.amdhsa_private_segment_fixed_size 0
		.amdhsa_kernarg_size 104
		.amdhsa_user_sgpr_count 6
		.amdhsa_user_sgpr_private_segment_buffer 1
		.amdhsa_user_sgpr_dispatch_ptr 0
		.amdhsa_user_sgpr_queue_ptr 0
		.amdhsa_user_sgpr_kernarg_segment_ptr 1
		.amdhsa_user_sgpr_dispatch_id 0
		.amdhsa_user_sgpr_flat_scratch_init 0
		.amdhsa_user_sgpr_private_segment_size 0
		.amdhsa_wavefront_size32 1
		.amdhsa_uses_dynamic_stack 0
		.amdhsa_system_sgpr_private_segment_wavefront_offset 0
		.amdhsa_system_sgpr_workgroup_id_x 1
		.amdhsa_system_sgpr_workgroup_id_y 0
		.amdhsa_system_sgpr_workgroup_id_z 0
		.amdhsa_system_sgpr_workgroup_info 0
		.amdhsa_system_vgpr_workitem_id 0
		.amdhsa_next_free_vgpr 184
		.amdhsa_next_free_sgpr 16
		.amdhsa_reserve_vcc 1
		.amdhsa_reserve_flat_scratch 0
		.amdhsa_float_round_mode_32 0
		.amdhsa_float_round_mode_16_64 0
		.amdhsa_float_denorm_mode_32 3
		.amdhsa_float_denorm_mode_16_64 3
		.amdhsa_dx10_clamp 1
		.amdhsa_ieee_mode 1
		.amdhsa_fp16_overflow 0
		.amdhsa_workgroup_processor_mode 1
		.amdhsa_memory_ordered 1
		.amdhsa_forward_progress 0
		.amdhsa_shared_vgpr_count 0
		.amdhsa_exception_fp_ieee_invalid_op 0
		.amdhsa_exception_fp_denorm_src 0
		.amdhsa_exception_fp_ieee_div_zero 0
		.amdhsa_exception_fp_ieee_overflow 0
		.amdhsa_exception_fp_ieee_underflow 0
		.amdhsa_exception_fp_ieee_inexact 0
		.amdhsa_exception_int_div_zero 0
	.end_amdhsa_kernel
	.text
.Lfunc_end0:
	.size	bluestein_single_back_len390_dim1_sp_op_CI_CI, .Lfunc_end0-bluestein_single_back_len390_dim1_sp_op_CI_CI
                                        ; -- End function
	.section	.AMDGPU.csdata,"",@progbits
; Kernel info:
; codeLenInByte = 13440
; NumSgprs: 18
; NumVgprs: 184
; ScratchSize: 0
; MemoryBound: 0
; FloatMode: 240
; IeeeMode: 1
; LDSByteSize: 9360 bytes/workgroup (compile time only)
; SGPRBlocks: 2
; VGPRBlocks: 22
; NumSGPRsForWavesPerEU: 18
; NumVGPRsForWavesPerEU: 184
; Occupancy: 5
; WaveLimiterHint : 1
; COMPUTE_PGM_RSRC2:SCRATCH_EN: 0
; COMPUTE_PGM_RSRC2:USER_SGPR: 6
; COMPUTE_PGM_RSRC2:TRAP_HANDLER: 0
; COMPUTE_PGM_RSRC2:TGID_X_EN: 1
; COMPUTE_PGM_RSRC2:TGID_Y_EN: 0
; COMPUTE_PGM_RSRC2:TGID_Z_EN: 0
; COMPUTE_PGM_RSRC2:TIDIG_COMP_CNT: 0
	.text
	.p2alignl 6, 3214868480
	.fill 48, 4, 3214868480
	.type	__hip_cuid_72e8a40e670fb605,@object ; @__hip_cuid_72e8a40e670fb605
	.section	.bss,"aw",@nobits
	.globl	__hip_cuid_72e8a40e670fb605
__hip_cuid_72e8a40e670fb605:
	.byte	0                               ; 0x0
	.size	__hip_cuid_72e8a40e670fb605, 1

	.ident	"AMD clang version 19.0.0git (https://github.com/RadeonOpenCompute/llvm-project roc-6.4.0 25133 c7fe45cf4b819c5991fe208aaa96edf142730f1d)"
	.section	".note.GNU-stack","",@progbits
	.addrsig
	.addrsig_sym __hip_cuid_72e8a40e670fb605
	.amdgpu_metadata
---
amdhsa.kernels:
  - .args:
      - .actual_access:  read_only
        .address_space:  global
        .offset:         0
        .size:           8
        .value_kind:     global_buffer
      - .actual_access:  read_only
        .address_space:  global
        .offset:         8
        .size:           8
        .value_kind:     global_buffer
      - .actual_access:  read_only
        .address_space:  global
        .offset:         16
        .size:           8
        .value_kind:     global_buffer
      - .actual_access:  read_only
        .address_space:  global
        .offset:         24
        .size:           8
        .value_kind:     global_buffer
      - .actual_access:  read_only
        .address_space:  global
        .offset:         32
        .size:           8
        .value_kind:     global_buffer
      - .offset:         40
        .size:           8
        .value_kind:     by_value
      - .address_space:  global
        .offset:         48
        .size:           8
        .value_kind:     global_buffer
      - .address_space:  global
        .offset:         56
        .size:           8
        .value_kind:     global_buffer
      - .address_space:  global
        .offset:         64
        .size:           8
        .value_kind:     global_buffer
      - .address_space:  global
        .offset:         72
        .size:           8
        .value_kind:     global_buffer
      - .offset:         80
        .size:           4
        .value_kind:     by_value
      - .address_space:  global
        .offset:         88
        .size:           8
        .value_kind:     global_buffer
      - .address_space:  global
        .offset:         96
        .size:           8
        .value_kind:     global_buffer
    .group_segment_fixed_size: 9360
    .kernarg_segment_align: 8
    .kernarg_segment_size: 104
    .language:       OpenCL C
    .language_version:
      - 2
      - 0
    .max_flat_workgroup_size: 117
    .name:           bluestein_single_back_len390_dim1_sp_op_CI_CI
    .private_segment_fixed_size: 0
    .sgpr_count:     18
    .sgpr_spill_count: 0
    .symbol:         bluestein_single_back_len390_dim1_sp_op_CI_CI.kd
    .uniform_work_group_size: 1
    .uses_dynamic_stack: false
    .vgpr_count:     184
    .vgpr_spill_count: 0
    .wavefront_size: 32
    .workgroup_processor_mode: 1
amdhsa.target:   amdgcn-amd-amdhsa--gfx1030
amdhsa.version:
  - 1
  - 2
...

	.end_amdgpu_metadata
